;; amdgpu-corpus repo=ROCm/rocFFT kind=compiled arch=gfx1030 opt=O3
	.text
	.amdgcn_target "amdgcn-amd-amdhsa--gfx1030"
	.amdhsa_code_object_version 6
	.protected	bluestein_single_fwd_len1521_dim1_sp_op_CI_CI ; -- Begin function bluestein_single_fwd_len1521_dim1_sp_op_CI_CI
	.globl	bluestein_single_fwd_len1521_dim1_sp_op_CI_CI
	.p2align	8
	.type	bluestein_single_fwd_len1521_dim1_sp_op_CI_CI,@function
bluestein_single_fwd_len1521_dim1_sp_op_CI_CI: ; @bluestein_single_fwd_len1521_dim1_sp_op_CI_CI
; %bb.0:
	s_load_dwordx4 s[12:15], s[4:5], 0x28
	v_mul_u32_u24_e32 v1, 0x231, v0
	v_mov_b32_e32 v97, 0
	s_mov_b32 s0, exec_lo
	v_lshrrev_b32_e32 v1, 16, v1
	v_add_nc_u32_e32 v96, s6, v1
	s_waitcnt lgkmcnt(0)
	v_cmpx_gt_u64_e64 s[12:13], v[96:97]
	s_cbranch_execz .LBB0_18
; %bb.1:
	s_clause 0x1
	s_load_dwordx4 s[8:11], s[4:5], 0x18
	s_load_dwordx4 s[0:3], s[4:5], 0x0
	v_mul_lo_u16 v1, 0x75, v1
	s_load_dwordx2 s[4:5], s[4:5], 0x38
	v_sub_nc_u16 v22, v0, v1
	v_and_b32_e32 v122, 0xffff, v22
	v_lshlrev_b32_e32 v121, 3, v122
	s_waitcnt lgkmcnt(0)
	s_load_dwordx4 s[16:19], s[8:9], 0x0
	s_clause 0x2
	global_load_dwordx2 v[109:110], v121, s[0:1]
	global_load_dwordx2 v[101:102], v121, s[0:1] offset:936
	global_load_dwordx2 v[103:104], v121, s[0:1] offset:1872
	v_add_co_u32 v72, s6, s0, v121
	v_add_co_ci_u32_e64 v73, null, s1, 0, s6
	v_add_nc_u32_e32 v36, 0x400, v121
	v_add_co_u32 v2, vcc_lo, 0x800, v72
	v_add_co_ci_u32_e32 v3, vcc_lo, 0, v73, vcc_lo
	v_add_co_u32 v4, vcc_lo, 0x1000, v72
	v_add_co_ci_u32_e32 v5, vcc_lo, 0, v73, vcc_lo
	v_add_co_u32 v8, vcc_lo, 0x1800, v72
	v_add_co_ci_u32_e32 v9, vcc_lo, 0, v73, vcc_lo
	s_waitcnt lgkmcnt(0)
	v_mad_u64_u32 v[0:1], null, s18, v96, 0
	v_mad_u64_u32 v[6:7], null, s16, v122, 0
	s_clause 0x1
	global_load_dwordx2 v[113:114], v[2:3], off offset:760
	global_load_dwordx2 v[111:112], v[2:3], off offset:1696
	s_mul_i32 s0, s17, 0x3a8
	s_mul_hi_u32 s1, s16, 0x3a8
	s_mul_i32 s6, s16, 0x3a8
	v_mad_u64_u32 v[10:11], null, s19, v96, v[1:2]
	v_mov_b32_e32 v1, v7
	v_add_co_u32 v11, vcc_lo, 0x2000, v72
	v_add_co_ci_u32_e32 v12, vcc_lo, 0, v73, vcc_lo
	v_mad_u64_u32 v[13:14], null, s17, v122, v[1:2]
	v_mov_b32_e32 v1, v10
	v_add_co_u32 v64, vcc_lo, 0x2800, v72
	v_add_co_ci_u32_e32 v65, vcc_lo, 0, v73, vcc_lo
	v_lshlrev_b64 v[0:1], 3, v[0:1]
	v_mov_b32_e32 v7, v13
	s_add_i32 s1, s1, s0
	s_clause 0x5
	global_load_dwordx2 v[107:108], v[4:5], off offset:584
	global_load_dwordx2 v[105:106], v[4:5], off offset:1520
	;; [unrolled: 1-line block ×6, first 2 shown]
	v_lshlrev_b64 v[2:3], 3, v[6:7]
	v_add_co_u32 v0, vcc_lo, s14, v0
	v_add_co_ci_u32_e32 v1, vcc_lo, s15, v1, vcc_lo
	v_add_nc_u32_e32 v28, 0xc00, v121
	v_add_co_u32 v0, vcc_lo, v0, v2
	v_add_co_ci_u32_e32 v1, vcc_lo, v1, v3, vcc_lo
	v_add_nc_u32_e32 v32, 0x1c00, v121
	v_add_co_u32 v2, vcc_lo, v0, s6
	v_add_co_ci_u32_e32 v3, vcc_lo, s1, v1, vcc_lo
	global_load_dwordx2 v[0:1], v[0:1], off
	v_add_co_u32 v4, vcc_lo, v2, s6
	v_add_co_ci_u32_e32 v5, vcc_lo, s1, v3, vcc_lo
	v_add_nc_u32_e32 v40, 0x2400, v121
	v_add_co_u32 v6, vcc_lo, v4, s6
	v_add_co_ci_u32_e32 v7, vcc_lo, s1, v5, vcc_lo
	v_add_co_u32 v8, vcc_lo, v6, s6
	v_add_co_ci_u32_e32 v9, vcc_lo, s1, v7, vcc_lo
	s_clause 0x2
	global_load_dwordx2 v[2:3], v[2:3], off
	global_load_dwordx2 v[4:5], v[4:5], off
	;; [unrolled: 1-line block ×3, first 2 shown]
	v_add_co_u32 v10, vcc_lo, v8, s6
	v_add_co_ci_u32_e32 v11, vcc_lo, s1, v9, vcc_lo
	global_load_dwordx2 v[8:9], v[8:9], off
	v_add_co_u32 v12, vcc_lo, v10, s6
	v_add_co_ci_u32_e32 v13, vcc_lo, s1, v11, vcc_lo
	global_load_dwordx2 v[10:11], v[10:11], off
	;; [unrolled: 3-line block ×8, first 2 shown]
	s_clause 0x1
	global_load_dwordx2 v[94:95], v[64:65], off offset:56
	global_load_dwordx2 v[97:98], v[64:65], off offset:992
	global_load_dwordx2 v[24:25], v[25:26], off
	v_add_nc_u32_e32 v23, 0x1400, v121
	s_load_dwordx4 s[8:11], s[10:11], 0x0
	v_cmp_gt_u16_e32 vcc_lo, 39, v22
	s_waitcnt vmcnt(14)
	v_mul_f32_e32 v26, v1, v110
	v_mul_f32_e32 v27, v0, v110
	v_fmac_f32_e32 v26, v0, v109
	v_fma_f32 v27, v1, v109, -v27
	s_waitcnt vmcnt(13)
	v_mul_f32_e32 v33, v3, v102
	v_mul_f32_e32 v1, v2, v102
	s_waitcnt vmcnt(12)
	v_mul_f32_e32 v0, v5, v104
	v_mul_f32_e32 v31, v4, v104
	s_waitcnt vmcnt(11)
	v_mul_f32_e32 v35, v6, v114
	v_fmac_f32_e32 v33, v2, v101
	v_mul_f32_e32 v2, v7, v114
	v_fma_f32 v34, v3, v101, -v1
	v_fmac_f32_e32 v0, v4, v103
	v_fma_f32 v1, v5, v103, -v31
	v_fma_f32 v3, v7, v113, -v35
	v_fmac_f32_e32 v2, v6, v113
	s_waitcnt vmcnt(10)
	v_mul_f32_e32 v5, v8, v112
	v_mul_f32_e32 v4, v9, v112
	ds_write2_b64 v121, v[26:27], v[33:34] offset1:117
	s_waitcnt vmcnt(9)
	v_mul_f32_e32 v6, v11, v108
	ds_write2_b64 v36, v[0:1], v[2:3] offset0:106 offset1:223
	v_fma_f32 v5, v9, v111, -v5
	v_mul_f32_e32 v1, v10, v108
	s_waitcnt vmcnt(8)
	v_mul_f32_e32 v3, v12, v106
	v_mul_f32_e32 v0, v13, v106
	v_fmac_f32_e32 v4, v8, v111
	s_waitcnt vmcnt(7)
	v_mul_f32_e32 v9, v14, v100
	v_mul_f32_e32 v2, v15, v100
	v_fma_f32 v7, v11, v107, -v1
	v_fma_f32 v1, v13, v105, -v3
	v_fmac_f32_e32 v6, v10, v107
	s_waitcnt vmcnt(6)
	v_mul_f32_e32 v8, v17, v91
	v_fma_f32 v3, v15, v99, -v9
	v_mul_f32_e32 v9, v16, v91
	v_fmac_f32_e32 v0, v12, v105
	v_fmac_f32_e32 v2, v14, v99
	s_waitcnt vmcnt(5)
	v_mul_f32_e32 v10, v19, v93
	v_mul_f32_e32 v11, v18, v93
	v_fmac_f32_e32 v8, v16, v90
	v_fma_f32 v9, v17, v90, -v9
	s_waitcnt vmcnt(4)
	v_mul_f32_e32 v12, v21, v89
	v_mul_f32_e32 v13, v20, v89
	v_fmac_f32_e32 v10, v18, v92
	s_waitcnt vmcnt(2)
	v_mul_f32_e32 v14, v30, v95
	v_mul_f32_e32 v15, v29, v95
	s_waitcnt vmcnt(0)
	v_mul_f32_e32 v16, v25, v98
	v_mul_f32_e32 v17, v24, v98
	v_fma_f32 v11, v19, v92, -v11
	v_fmac_f32_e32 v12, v20, v88
	v_fma_f32 v13, v21, v88, -v13
	v_fmac_f32_e32 v14, v29, v94
	v_fma_f32 v15, v30, v94, -v15
	v_fmac_f32_e32 v16, v24, v97
	v_fma_f32 v17, v25, v97, -v17
	ds_write2_b64 v28, v[4:5], v[6:7] offset0:84 offset1:201
	ds_write2_b64 v23, v[0:1], v[2:3] offset0:62 offset1:179
	;; [unrolled: 1-line block ×4, first 2 shown]
	ds_write_b64 v121, v[16:17] offset:11232
	s_waitcnt lgkmcnt(0)
	s_barrier
	buffer_gl0_inv
	ds_read2_b64 v[4:7], v121 offset1:117
	ds_read_b64 v[20:21], v121 offset:11232
	ds_read2_b64 v[8:11], v28 offset0:84 offset1:201
	ds_read2_b64 v[0:3], v32 offset0:40 offset1:157
	;; [unrolled: 1-line block ×5, first 2 shown]
	s_waitcnt lgkmcnt(0)
	s_barrier
	buffer_gl0_inv
	v_add_f32_e32 v29, v4, v6
	v_add_f32_e32 v30, v5, v7
	;; [unrolled: 1-line block ×4, first 2 shown]
	v_sub_f32_e32 v6, v6, v20
	v_sub_f32_e32 v7, v7, v21
	v_add_f32_e32 v44, v18, v12
	v_sub_f32_e32 v46, v12, v18
	v_add_f32_e32 v12, v29, v12
	v_add_f32_e32 v45, v19, v13
	v_sub_f32_e32 v47, v13, v19
	v_add_f32_e32 v13, v30, v13
	v_mul_f32_e32 v29, 0xbeedf032, v7
	v_mul_f32_e32 v30, 0xbeedf032, v6
	;; [unrolled: 1-line block ×12, first 2 shown]
	v_add_f32_e32 v12, v12, v14
	v_add_f32_e32 v34, v2, v8
	v_sub_f32_e32 v37, v8, v2
	v_fma_f32 v134, 0x3f62ad3f, v31, -v29
	v_fmamk_f32 v135, v33, 0x3f62ad3f, v30
	v_fmac_f32_e32 v29, 0x3f62ad3f, v31
	v_fma_f32 v30, 0x3f62ad3f, v33, -v30
	v_fma_f32 v136, 0x3f116cb1, v31, -v53
	v_fmamk_f32 v137, v33, 0x3f116cb1, v54
	v_fmac_f32_e32 v53, 0x3f116cb1, v31
	v_fma_f32 v54, 0x3f116cb1, v33, -v54
	;; [unrolled: 4-line block ×5, first 2 shown]
	v_fma_f32 v144, 0xbf788fa5, v31, -v7
	v_fmac_f32_e32 v7, 0xbf788fa5, v31
	v_fmamk_f32 v31, v33, 0xbf788fa5, v6
	v_fma_f32 v6, 0xbf788fa5, v33, -v6
	v_add_f32_e32 v13, v13, v15
	v_add_f32_e32 v8, v12, v8
	;; [unrolled: 1-line block ×3, first 2 shown]
	v_sub_f32_e32 v38, v9, v3
	v_add_f32_e32 v135, v5, v135
	v_add_f32_e32 v30, v5, v30
	;; [unrolled: 1-line block ×28, first 2 shown]
	v_sub_f32_e32 v50, v14, v16
	v_sub_f32_e32 v51, v15, v17
	v_mul_f32_e32 v61, 0xbf52af12, v47
	v_mul_f32_e32 v62, 0xbf6f5d39, v47
	;; [unrolled: 1-line block ×12, first 2 shown]
	v_add_f32_e32 v7, v7, v25
	v_add_f32_e32 v6, v6, v26
	;; [unrolled: 1-line block ×3, first 2 shown]
	v_sub_f32_e32 v42, v10, v0
	v_add_f32_e32 v48, v16, v14
	v_add_f32_e32 v49, v17, v15
	v_mul_f32_e32 v75, 0xbf7e222b, v51
	v_mul_f32_e32 v76, 0xbe750f2a, v51
	;; [unrolled: 1-line block ×12, first 2 shown]
	v_fma_f32 v14, 0x3f116cb1, v44, -v61
	v_fmac_f32_e32 v61, 0x3f116cb1, v44
	v_fma_f32 v15, 0xbeb58ec6, v44, -v62
	v_fmac_f32_e32 v62, 0xbeb58ec6, v44
	;; [unrolled: 2-line block ×6, first 2 shown]
	v_fmamk_f32 v44, v45, 0x3f116cb1, v68
	v_fma_f32 v68, 0x3f116cb1, v45, -v68
	v_fmamk_f32 v148, v45, 0xbeb58ec6, v69
	v_fma_f32 v69, 0xbeb58ec6, v45, -v69
	v_fmamk_f32 v149, v45, 0xbf788fa5, v70
	v_fma_f32 v70, 0xbf788fa5, v45, -v70
	v_fmamk_f32 v150, v45, 0xbf3f9e67, v71
	v_fmamk_f32 v152, v45, 0x3f62ad3f, v46
	v_add_f32_e32 v7, v7, v27
	v_add_f32_e32 v0, v6, v0
	;; [unrolled: 1-line block ×3, first 2 shown]
	v_sub_f32_e32 v43, v11, v1
	v_mul_f32_e32 v85, 0xbf6f5d39, v38
	v_mul_f32_e32 v86, 0x3f29c268, v38
	;; [unrolled: 1-line block ×12, first 2 shown]
	v_fma_f32 v71, 0xbf3f9e67, v45, -v71
	v_fmamk_f32 v151, v45, 0x3df6dbef, v74
	v_fma_f32 v74, 0x3df6dbef, v45, -v74
	v_fma_f32 v45, 0x3f62ad3f, v45, -v46
	v_fma_f32 v46, 0x3df6dbef, v48, -v75
	v_fmac_f32_e32 v75, 0x3df6dbef, v48
	v_fma_f32 v153, 0xbf788fa5, v48, -v76
	v_fmac_f32_e32 v76, 0xbf788fa5, v48
	v_fma_f32 v154, 0xbeb58ec6, v48, -v77
	;; [unrolled: 2-line block ×5, first 2 shown]
	v_fmac_f32_e32 v51, 0xbf3f9e67, v48
	v_fmamk_f32 v48, v49, 0x3df6dbef, v80
	v_fma_f32 v80, 0x3df6dbef, v49, -v80
	v_fmamk_f32 v158, v49, 0xbf788fa5, v81
	v_fma_f32 v81, 0xbf788fa5, v49, -v81
	v_fmamk_f32 v159, v49, 0xbeb58ec6, v82
	v_fma_f32 v82, 0xbeb58ec6, v49, -v82
	v_fmamk_f32 v160, v49, 0x3f62ad3f, v83
	v_fmamk_f32 v162, v49, 0xbf3f9e67, v50
	v_add_f32_e32 v8, v14, v134
	v_add_f32_e32 v9, v44, v135
	;; [unrolled: 1-line block ×15, first 2 shown]
	v_mul_f32_e32 v125, 0xbf29c268, v42
	v_mul_f32_e32 v127, 0x3f7e222b, v42
	;; [unrolled: 1-line block ×6, first 2 shown]
	v_fma_f32 v83, 0x3f62ad3f, v49, -v83
	v_fmamk_f32 v161, v49, 0x3f116cb1, v84
	v_fma_f32 v84, 0x3f116cb1, v49, -v84
	v_fma_f32 v49, 0xbf3f9e67, v49, -v50
	;; [unrolled: 1-line block ×3, first 2 shown]
	v_fmac_f32_e32 v85, 0xbeb58ec6, v34
	v_fma_f32 v163, 0xbf3f9e67, v34, -v86
	v_fmac_f32_e32 v86, 0xbf3f9e67, v34
	v_fma_f32 v164, 0x3f62ad3f, v34, -v87
	;; [unrolled: 2-line block ×5, first 2 shown]
	v_fmac_f32_e32 v38, 0x3f116cb1, v34
	v_fmamk_f32 v34, v35, 0xbeb58ec6, v117
	v_fma_f32 v117, 0xbeb58ec6, v35, -v117
	v_fmamk_f32 v168, v35, 0xbf3f9e67, v118
	v_fma_f32 v118, 0xbf3f9e67, v35, -v118
	;; [unrolled: 2-line block ×3, first 2 shown]
	v_fmamk_f32 v170, v35, 0x3df6dbef, v120
	v_fmamk_f32 v172, v35, 0x3f116cb1, v37
	v_add_f32_e32 v5, v45, v5
	v_add_f32_e32 v8, v46, v8
	;; [unrolled: 1-line block ×13, first 2 shown]
	v_sub_f32_e32 v52, v25, v27
	v_mul_f32_e32 v124, 0xbf29c268, v43
	v_fmamk_f32 v173, v41, 0xbf3f9e67, v125
	v_fma_f32 v125, 0xbf3f9e67, v41, -v125
	v_fmamk_f32 v175, v41, 0x3df6dbef, v127
	v_fma_f32 v127, 0x3df6dbef, v41, -v127
	;; [unrolled: 2-line block ×3, first 2 shown]
	v_fmamk_f32 v179, v41, 0xbf788fa5, v131
	v_fmamk_f32 v183, v41, 0xbeb58ec6, v42
	v_add_f32_e32 v4, v47, v4
	v_add_f32_e32 v9, v34, v9
	;; [unrolled: 1-line block ×12, first 2 shown]
	v_mul_f32_e32 v126, 0x3f7e222b, v43
	v_mul_f32_e32 v128, 0xbf52af12, v43
	;; [unrolled: 1-line block ×5, first 2 shown]
	v_fma_f32 v120, 0x3df6dbef, v35, -v120
	v_fmamk_f32 v171, v35, 0xbf788fa5, v123
	v_fma_f32 v123, 0xbf788fa5, v35, -v123
	v_fma_f32 v35, 0x3f116cb1, v35, -v37
	;; [unrolled: 1-line block ×3, first 2 shown]
	v_add_f32_e32 v10, v75, v10
	v_add_f32_e32 v13, v153, v13
	;; [unrolled: 1-line block ×16, first 2 shown]
	v_mul_f32_e32 v12, 0xbe750f2a, v52
	v_sub_f32_e32 v18, v24, v26
	v_fmac_f32_e32 v124, 0xbf3f9e67, v39
	v_fma_f32 v174, 0x3df6dbef, v39, -v126
	v_fma_f32 v182, 0xbeb58ec6, v39, -v43
	v_add_f32_e32 v10, v85, v10
	v_add_f32_e32 v13, v163, v13
	;; [unrolled: 1-line block ×6, first 2 shown]
	v_fmac_f32_e32 v43, 0xbeb58ec6, v39
	v_fma_f32 v2, 0xbeb58ec6, v41, -v42
	v_add_f32_e32 v21, v27, v25
	v_fma_f32 v3, 0xbf788fa5, v20, -v12
	v_mul_f32_e32 v24, 0xbe750f2a, v18
	v_mul_f32_e32 v27, 0x3eedf032, v52
	v_add_f32_e32 v30, v33, v138
	v_add_f32_e32 v33, v63, v55
	v_add_f32_e32 v55, v66, v57
	v_add_f32_e32 v56, v71, v58
	v_add_f32_e32 v57, v146, v142
	v_add_f32_e32 v15, v76, v15
	v_add_f32_e32 v8, v124, v10
	v_add_f32_e32 v10, v174, v13
	v_add_f32_e32 v25, v43, v4
	v_add_f32_e32 v26, v2, v5
	v_add_f32_e32 v2, v3, v6
	v_fma_f32 v4, 0xbf788fa5, v21, -v24
	v_fma_f32 v5, 0x3f62ad3f, v20, -v27
	v_mul_f32_e32 v6, 0x3eedf032, v18
	v_fmac_f32_e32 v126, 0x3df6dbef, v39
	v_add_f32_e32 v59, v67, v59
	v_add_f32_e32 v60, v74, v60
	;; [unrolled: 1-line block ×8, first 2 shown]
	v_fmamk_f32 v5, v21, 0x3f62ad3f, v6
	v_mul_f32_e32 v9, 0xbf29c268, v18
	v_add_f32_e32 v30, v154, v30
	v_fmamk_f32 v3, v21, 0xbf788fa5, v24
	v_add_f32_e32 v58, v151, v143
	v_add_f32_e32 v33, v77, v33
	v_fma_f32 v180, 0x3f62ad3f, v39, -v132
	v_add_f32_e32 v61, v147, v144
	v_add_f32_e32 v56, v84, v60
	;; [unrolled: 1-line block ×6, first 2 shown]
	v_fmac_f32_e32 v12, 0xbf788fa5, v20
	v_fmac_f32_e32 v27, 0x3f62ad3f, v20
	v_add_f32_e32 v5, v5, v11
	v_fmamk_f32 v11, v21, 0xbf3f9e67, v9
	v_mul_f32_e32 v24, 0xbf6f5d39, v52
	v_fma_f32 v176, 0x3f116cb1, v39, -v128
	v_add_f32_e32 v30, v164, v30
	v_add_f32_e32 v3, v3, v7
	v_mul_f32_e32 v10, 0xbf29c268, v52
	v_fma_f32 v7, 0x3f62ad3f, v21, -v6
	v_fmac_f32_e32 v128, 0x3f116cb1, v39
	v_add_f32_e32 v54, v161, v58
	v_add_f32_e32 v55, v79, v59
	;; [unrolled: 1-line block ×3, first 2 shown]
	v_fmamk_f32 v181, v41, 0x3f62ad3f, v133
	v_fma_f32 v133, 0x3f62ad3f, v41, -v133
	v_add_f32_e32 v57, v157, v61
	v_add_f32_e32 v51, v123, v56
	v_add_f32_e32 v16, v180, v48
	v_add_f32_e32 v66, v12, v8
	v_add_f32_e32 v6, v27, v13
	v_fma_f32 v12, 0xbf3f9e67, v21, -v9
	v_add_f32_e32 v9, v11, v29
	v_fma_f32 v27, 0xbeb58ec6, v20, -v24
	v_mul_f32_e32 v29, 0xbf6f5d39, v18
	v_fma_f32 v178, 0xbf788fa5, v39, -v130
	v_add_f32_e32 v15, v176, v30
	v_fma_f32 v8, 0xbf3f9e67, v20, -v10
	v_add_f32_e32 v7, v7, v14
	v_mul_f32_e32 v14, 0x3f52af12, v52
	v_fmac_f32_e32 v132, 0x3f62ad3f, v39
	v_add_f32_e32 v49, v171, v54
	v_add_f32_e32 v50, v116, v55
	;; [unrolled: 1-line block ×3, first 2 shown]
	v_fmac_f32_e32 v10, 0xbf3f9e67, v20
	v_add_f32_e32 v53, v167, v57
	v_add_f32_e32 v19, v133, v51
	;; [unrolled: 1-line block ×3, first 2 shown]
	v_fmamk_f32 v27, v21, 0xbeb58ec6, v29
	v_fma_f32 v29, 0xbeb58ec6, v21, -v29
	v_add_f32_e32 v33, v178, v44
	v_add_f32_e32 v8, v8, v15
	v_fma_f32 v13, 0x3f116cb1, v20, -v14
	v_mul_f32_e32 v15, 0x3f52af12, v18
	v_add_f32_e32 v17, v181, v49
	v_add_f32_e32 v38, v132, v50
	;; [unrolled: 1-line block ×4, first 2 shown]
	v_fmac_f32_e32 v24, 0xbeb58ec6, v20
	v_mul_f32_e32 v30, 0x3f7e222b, v52
	v_mul_f32_e32 v31, 0x3f7e222b, v18
	v_fmac_f32_e32 v130, 0xbf788fa5, v39
	v_fma_f32 v131, 0xbf788fa5, v41, -v131
	v_add_f32_e32 v44, v182, v53
	v_add_f32_e32 v19, v29, v19
	v_mul_lo_u16 v29, v22, 13
	v_mov_b32_e32 v53, 3
	v_add_f32_e32 v12, v13, v33
	v_fmamk_f32 v13, v21, 0x3f116cb1, v15
	v_add_f32_e32 v17, v27, v17
	v_add_f32_e32 v18, v24, v38
	v_fma_f32 v24, 0x3df6dbef, v20, -v30
	v_fmamk_f32 v27, v21, 0x3df6dbef, v31
	v_fmac_f32_e32 v30, 0x3df6dbef, v20
	v_fma_f32 v31, 0x3df6dbef, v21, -v31
	v_add_f32_e32 v35, v130, v46
	v_add_f32_e32 v37, v131, v47
	v_fmac_f32_e32 v14, 0x3f116cb1, v20
	v_fma_f32 v15, 0x3f116cb1, v21, -v15
	v_lshlrev_b32_sdwa v74, v53, v29 dst_sel:DWORD dst_unused:UNUSED_PAD src0_sel:DWORD src1_sel:WORD_0
	v_add_f32_e32 v13, v13, v34
	v_add_f32_e32 v20, v24, v44
	;; [unrolled: 1-line block ×7, first 2 shown]
	ds_write2_b64 v74, v[0:1], v[2:3] offset1:1
	ds_write2_b64 v74, v[4:5], v[8:9] offset0:2 offset1:3
	ds_write2_b64 v74, v[12:13], v[16:17] offset0:4 offset1:5
	;; [unrolled: 1-line block ×5, first 2 shown]
	ds_write_b64 v74, v[66:67] offset:96
	s_waitcnt lgkmcnt(0)
	s_barrier
	buffer_gl0_inv
	ds_read2_b64 v[24:27], v121 offset1:117
	ds_read2_b64 v[28:31], v28 offset0:123 offset1:240
	ds_read2_b64 v[32:35], v32 offset0:118 offset1:235
	;; [unrolled: 1-line block ×5, first 2 shown]
                                        ; implicit-def: $vgpr44
                                        ; implicit-def: $vgpr46
	s_and_saveexec_b32 s0, vcc_lo
	s_cbranch_execz .LBB0_3
; %bb.2:
	ds_read_b64 v[66:67], v121 offset:3744
	ds_read_b64 v[44:45], v121 offset:7800
	;; [unrolled: 1-line block ×3, first 2 shown]
.LBB0_3:
	s_or_b32 exec_lo, exec_lo, s0
	v_and_b32_e32 v0, 0xff, v122
	v_add_co_u32 v48, null, 0xea, v122
	v_mov_b32_e32 v1, 0x4ec5
	v_add_co_u32 v50, null, 0x15f, v122
	v_mul_lo_u16 v0, 0x4f, v0
	v_add_nc_u16 v51, v122, 0x1d4
	v_mul_u32_u24_sdwa v2, v48, v1 dst_sel:DWORD dst_unused:UNUSED_PAD src0_sel:WORD_0 src1_sel:DWORD
	v_add_nc_u16 v49, v122, 0x75
	v_mov_b32_e32 v62, 39
	v_lshrrev_b16 v54, 10, v0
	v_mul_u32_u24_sdwa v0, v50, v1 dst_sel:DWORD dst_unused:UNUSED_PAD src0_sel:WORD_0 src1_sel:DWORD
	v_lshrrev_b32_e32 v55, 18, v2
	v_mul_u32_u24_sdwa v1, v51, v1 dst_sel:DWORD dst_unused:UNUSED_PAD src0_sel:WORD_0 src1_sel:DWORD
	v_and_b32_e32 v52, 0xff, v49
	v_mul_lo_u16 v2, v54, 13
	v_lshrrev_b32_e32 v56, 18, v0
	v_mul_lo_u16 v0, v55, 13
	v_lshrrev_b32_e32 v123, 18, v1
	v_mul_lo_u16 v3, 0x4f, v52
	v_sub_nc_u16 v2, v122, v2
	v_mul_lo_u16 v1, v56, 13
	v_sub_nc_u16 v57, v48, v0
	v_mul_lo_u16 v0, v123, 13
	v_lshrrev_b16 v59, 10, v3
	v_and_b32_e32 v58, 0xff, v2
	v_sub_nc_u16 v60, v50, v1
	v_lshlrev_b16 v1, 1, v57
	v_sub_nc_u16 v124, v51, v0
	v_mul_lo_u16 v3, v59, 13
	v_lshlrev_b32_e32 v2, 4, v58
	v_lshlrev_b16 v0, 1, v60
	v_lshlrev_b32_sdwa v1, v53, v1 dst_sel:DWORD dst_unused:UNUSED_PAD src0_sel:DWORD src1_sel:WORD_0
	v_mul_u32_u24_sdwa v54, v54, v62 dst_sel:DWORD dst_unused:UNUSED_PAD src0_sel:WORD_0 src1_sel:DWORD
	v_mad_u16 v55, v55, 39, v57
	global_load_dwordx4 v[20:23], v2, s[2:3]
	v_lshlrev_b32_sdwa v0, v53, v0 dst_sel:DWORD dst_unused:UNUSED_PAD src0_sel:DWORD src1_sel:WORD_0
	global_load_dwordx4 v[8:11], v1, s[2:3]
	v_mad_u16 v56, v56, 39, v60
	v_add_lshl_u32 v128, v54, v58, 3
	v_lshlrev_b32_sdwa v126, v53, v55 dst_sel:DWORD dst_unused:UNUSED_PAD src0_sel:DWORD src1_sel:WORD_0
	global_load_dwordx4 v[4:7], v0, s[2:3]
	v_sub_nc_u16 v1, v49, v3
	v_lshlrev_b32_sdwa v125, v53, v56 dst_sel:DWORD dst_unused:UNUSED_PAD src0_sel:DWORD src1_sel:WORD_0
	v_mul_u32_u24_sdwa v57, v59, v62 dst_sel:DWORD dst_unused:UNUSED_PAD src0_sel:WORD_0 src1_sel:DWORD
	v_and_b32_e32 v61, 0xff, v1
	v_lshlrev_b32_e32 v16, 4, v61
	v_add_lshl_u32 v127, v57, v61, 3
	global_load_dwordx4 v[16:19], v16, s[2:3]
	v_lshlrev_b16 v2, 1, v124
	v_lshlrev_b32_sdwa v2, v53, v2 dst_sel:DWORD dst_unused:UNUSED_PAD src0_sel:DWORD src1_sel:WORD_0
	global_load_dwordx4 v[0:3], v2, s[2:3]
	s_waitcnt vmcnt(0) lgkmcnt(0)
	s_barrier
	buffer_gl0_inv
	v_mul_f32_e32 v53, v29, v21
	v_mul_f32_e32 v54, v28, v21
	;; [unrolled: 1-line block ×10, first 2 shown]
	v_fma_f32 v28, v28, v20, -v53
	v_fmac_f32_e32 v54, v29, v20
	v_fma_f32 v29, v32, v22, -v55
	v_fmac_f32_e32 v56, v33, v22
	v_mul_f32_e32 v57, v37, v9
	v_mul_f32_e32 v61, v39, v5
	v_fmac_f32_e32 v58, v37, v8
	v_fma_f32 v37, v40, v10, -v59
	v_fmac_f32_e32 v60, v41, v10
	v_fmac_f32_e32 v62, v39, v4
	v_fma_f32 v39, v42, v6, -v63
	v_fmac_f32_e32 v68, v43, v6
	v_mul_f32_e32 v32, v31, v17
	v_mul_f32_e32 v33, v30, v17
	;; [unrolled: 1-line block ×4, first 2 shown]
	v_add_f32_e32 v43, v54, v56
	v_fma_f32 v30, v30, v16, -v32
	v_fmac_f32_e32 v33, v31, v16
	v_fma_f32 v42, v34, v18, -v53
	v_fmac_f32_e32 v55, v35, v18
	v_fma_f32 v36, v36, v8, -v57
	v_fma_f32 v38, v38, v4, -v61
	v_mul_f32_e32 v69, v45, v1
	v_mul_f32_e32 v70, v44, v1
	;; [unrolled: 1-line block ×4, first 2 shown]
	v_add_f32_e32 v32, v28, v29
	v_fma_f32 v40, v44, v0, -v69
	v_fmac_f32_e32 v70, v45, v0
	v_fma_f32 v41, v46, v2, -v71
	v_fmac_f32_e32 v75, v47, v2
	v_add_f32_e32 v31, v24, v28
	v_add_f32_e32 v34, v25, v54
	;; [unrolled: 1-line block ×4, first 2 shown]
	v_sub_f32_e32 v71, v70, v75
	v_add_f32_e32 v70, v70, v75
	v_fma_f32 v25, -0.5, v43, v25
	v_add_f32_e32 v43, v30, v42
	v_add_f32_e32 v79, v33, v55
	v_sub_f32_e32 v35, v54, v56
	v_add_f32_e32 v46, v36, v37
	v_add_f32_e32 v54, v58, v60
	v_sub_f32_e32 v44, v28, v29
	v_add_f32_e32 v45, v12, v36
	v_sub_f32_e32 v47, v58, v60
	;; [unrolled: 2-line block ×3, first 2 shown]
	v_add_f32_e32 v36, v14, v38
	v_add_f32_e32 v58, v38, v39
	v_sub_f32_e32 v59, v62, v68
	v_add_f32_e32 v61, v15, v62
	v_add_f32_e32 v62, v62, v68
	v_sub_f32_e32 v63, v38, v39
	v_add_f32_e32 v38, v66, v40
	v_sub_f32_e32 v77, v40, v41
	v_fma_f32 v24, -0.5, v32, v24
	v_fmac_f32_e32 v66, -0.5, v69
	v_fmac_f32_e32 v67, -0.5, v70
	v_add_f32_e32 v28, v31, v29
	v_add_f32_e32 v29, v34, v56
	;; [unrolled: 1-line block ×3, first 2 shown]
	v_sub_f32_e32 v56, v33, v55
	v_add_f32_e32 v78, v27, v33
	v_sub_f32_e32 v80, v30, v42
	v_fma_f32 v26, -0.5, v43, v26
	v_fmac_f32_e32 v27, -0.5, v79
	v_fma_f32 v12, -0.5, v46, v12
	v_fma_f32 v13, -0.5, v54, v13
	v_fma_f32 v14, -0.5, v58, v14
	v_add_f32_e32 v33, v61, v68
	v_fmac_f32_e32 v15, -0.5, v62
	v_add_f32_e32 v68, v38, v41
	v_add_f32_e32 v69, v76, v75
	v_fmamk_f32 v34, v35, 0x3f5db3d7, v24
	v_fmac_f32_e32 v24, 0xbf5db3d7, v35
	v_fmamk_f32 v35, v44, 0xbf5db3d7, v25
	v_fmamk_f32 v70, v71, 0x3f5db3d7, v66
	v_fmac_f32_e32 v66, 0xbf5db3d7, v71
	v_fmamk_f32 v71, v77, 0xbf5db3d7, v67
	v_fmac_f32_e32 v67, 0x3f5db3d7, v77
	v_fmac_f32_e32 v25, 0x3f5db3d7, v44
	v_add_f32_e32 v30, v45, v37
	v_add_f32_e32 v32, v36, v39
	;; [unrolled: 1-line block ×4, first 2 shown]
	v_fmamk_f32 v42, v56, 0x3f5db3d7, v26
	v_fmamk_f32 v43, v80, 0xbf5db3d7, v27
	v_fmac_f32_e32 v26, 0xbf5db3d7, v56
	v_fmac_f32_e32 v27, 0x3f5db3d7, v80
	v_add_f32_e32 v31, v53, v60
	v_fmamk_f32 v38, v47, 0x3f5db3d7, v12
	v_fmamk_f32 v39, v57, 0xbf5db3d7, v13
	v_fmac_f32_e32 v12, 0xbf5db3d7, v47
	v_fmac_f32_e32 v13, 0x3f5db3d7, v57
	v_fmamk_f32 v40, v59, 0x3f5db3d7, v14
	v_fmac_f32_e32 v14, 0xbf5db3d7, v59
	v_fmamk_f32 v41, v63, 0xbf5db3d7, v15
	v_fmac_f32_e32 v15, 0x3f5db3d7, v63
	ds_write2_b64 v128, v[28:29], v[34:35] offset1:13
	ds_write_b64 v128, v[24:25] offset:208
	ds_write2_b64 v127, v[36:37], v[42:43] offset1:13
	ds_write_b64 v127, v[26:27] offset:208
	;; [unrolled: 2-line block ×4, first 2 shown]
	s_and_saveexec_b32 s0, vcc_lo
	s_cbranch_execz .LBB0_5
; %bb.4:
	v_mad_u16 v12, v123, 39, v124
	v_mov_b32_e32 v13, 3
	v_lshlrev_b32_sdwa v12, v13, v12 dst_sel:DWORD dst_unused:UNUSED_PAD src0_sel:DWORD src1_sel:WORD_0
	ds_write2_b64 v12, v[68:69], v[70:71] offset1:13
	ds_write_b64 v12, v[66:67] offset:208
.LBB0_5:
	s_or_b32 exec_lo, exec_lo, s0
	v_add_nc_u32_e32 v12, 0xc00, v121
	v_add_nc_u32_e32 v13, 0x1c00, v121
	v_add_nc_u32_e32 v14, 0x400, v121
	v_add_nc_u32_e32 v15, 0x1400, v121
	v_add_nc_u32_e32 v28, 0x2400, v121
	s_waitcnt lgkmcnt(0)
	s_barrier
	buffer_gl0_inv
	ds_read2_b64 v[24:27], v121 offset1:117
	ds_read2_b64 v[44:47], v12 offset0:123 offset1:240
	ds_read2_b64 v[40:43], v13 offset0:118 offset1:235
	ds_read2_b64 v[32:35], v14 offset0:106 offset1:223
	ds_read2_b64 v[60:63], v15 offset0:101 offset1:218
	ds_read2_b64 v[56:59], v28 offset0:96 offset1:213
	s_and_saveexec_b32 s0, vcc_lo
	s_cbranch_execz .LBB0_7
; %bb.6:
	ds_read_b64 v[68:69], v121 offset:3744
	ds_read_b64 v[70:71], v121 offset:7800
	;; [unrolled: 1-line block ×3, first 2 shown]
.LBB0_7:
	s_or_b32 exec_lo, exec_lo, s0
	v_mov_b32_e32 v12, 0xa41b
	v_and_b32_e32 v13, 0xff, v122
	v_mul_lo_u16 v15, 0xa5, v52
	v_mov_b32_e32 v84, 0x75
	v_mov_b32_e32 v75, 3
	v_mul_u32_u24_sdwa v14, v48, v12 dst_sel:DWORD dst_unused:UNUSED_PAD src0_sel:WORD_0 src1_sel:DWORD
	v_mul_lo_u16 v13, 0xa5, v13
	v_mul_u32_u24_sdwa v28, v50, v12 dst_sel:DWORD dst_unused:UNUSED_PAD src0_sel:WORD_0 src1_sel:DWORD
	v_mul_u32_u24_sdwa v12, v51, v12 dst_sel:DWORD dst_unused:UNUSED_PAD src0_sel:WORD_0 src1_sel:DWORD
	v_lshrrev_b16 v15, 8, v15
	v_lshrrev_b32_e32 v14, 16, v14
	v_lshrrev_b16 v13, 8, v13
	v_lshrrev_b32_e32 v28, 16, v28
	v_lshrrev_b32_e32 v12, 16, v12
	v_sub_nc_u16 v31, v49, v15
	v_sub_nc_u16 v29, v48, v14
	;; [unrolled: 1-line block ×5, first 2 shown]
	v_lshrrev_b16 v31, 1, v31
	v_lshrrev_b16 v29, 1, v29
	;; [unrolled: 1-line block ×3, first 2 shown]
	v_and_b32_e32 v31, 0x7f, v31
	v_add_nc_u16 v14, v29, v14
	v_lshrrev_b16 v29, 1, v36
	v_lshrrev_b16 v36, 1, v37
	v_and_b32_e32 v30, 0x7f, v30
	v_add_nc_u16 v15, v31, v15
	v_lshrrev_b16 v76, 5, v14
	v_add_nc_u16 v14, v29, v28
	v_add_nc_u16 v12, v36, v12
	;; [unrolled: 1-line block ×3, first 2 shown]
	v_mul_lo_u16 v28, v76, 39
	v_lshrrev_b16 v77, 5, v14
	v_lshrrev_b16 v12, 5, v12
	;; [unrolled: 1-line block ×4, first 2 shown]
	v_sub_nc_u16 v78, v48, v28
	v_mul_lo_u16 v15, v77, 39
	v_mul_lo_u16 v12, v12, 39
	v_and_b32_e32 v79, 7, v13
	v_and_b32_e32 v80, 7, v14
	v_lshlrev_b16 v13, 4, v78
	v_sub_nc_u16 v81, v50, v15
	v_sub_nc_u16 v129, v51, v12
	v_mul_lo_u16 v12, v79, 39
	v_mul_lo_u16 v14, v80, 39
	v_and_b32_e32 v13, 0xffff, v13
	v_lshlrev_b16 v15, 4, v81
	v_lshlrev_b16 v28, 4, v129
	v_sub_nc_u16 v29, v122, v12
	v_sub_nc_u16 v48, v49, v14
	v_add_co_u32 v12, s0, s2, v13
	v_add_co_ci_u32_e64 v13, null, s3, 0, s0
	v_and_b32_e32 v14, 0xffff, v15
	v_and_b32_e32 v15, 0xffff, v28
	v_and_b32_e32 v82, 0xff, v29
	global_load_dwordx4 v[36:39], v[12:13], off offset:208
	v_and_b32_e32 v83, 0xff, v48
	v_add_co_u32 v12, s0, s2, v14
	v_add_co_ci_u32_e64 v13, null, s3, 0, s0
	v_add_co_u32 v14, s0, s2, v15
	v_add_co_ci_u32_e64 v15, null, s3, 0, s0
	v_lshlrev_b32_e32 v48, 4, v82
	v_lshlrev_b32_e32 v49, 4, v83
	s_clause 0x3
	global_load_dwordx4 v[28:31], v[12:13], off offset:208
	global_load_dwordx4 v[12:15], v[14:15], off offset:208
	global_load_dwordx4 v[52:55], v48, s[2:3] offset:208
	global_load_dwordx4 v[48:51], v49, s[2:3] offset:208
	v_mad_u16 v76, 0x75, v76, v78
	v_mad_u16 v77, 0x75, v77, v81
	v_mul_u32_u24_sdwa v78, v80, v84 dst_sel:DWORD dst_unused:UNUSED_PAD src0_sel:WORD_0 src1_sel:DWORD
	v_mul_u32_u24_sdwa v79, v79, v84 dst_sel:DWORD dst_unused:UNUSED_PAD src0_sel:WORD_0 src1_sel:DWORD
	s_waitcnt vmcnt(0) lgkmcnt(0)
	v_lshlrev_b32_sdwa v131, v75, v76 dst_sel:DWORD dst_unused:UNUSED_PAD src0_sel:DWORD src1_sel:WORD_0
	v_lshlrev_b32_sdwa v130, v75, v77 dst_sel:DWORD dst_unused:UNUSED_PAD src0_sel:DWORD src1_sel:WORD_0
	v_add_lshl_u32 v132, v78, v83, 3
	v_add_lshl_u32 v133, v79, v82, 3
	s_barrier
	buffer_gl0_inv
	v_mul_f32_e32 v79, v60, v37
	v_mul_f32_e32 v80, v57, v39
	;; [unrolled: 1-line block ×4, first 2 shown]
	v_fmac_f32_e32 v79, v61, v36
	v_fma_f32 v61, v56, v38, -v80
	v_fmac_f32_e32 v81, v57, v38
	v_fma_f32 v60, v60, v36, -v78
	v_mul_f32_e32 v83, v62, v29
	v_mul_f32_e32 v85, v58, v31
	;; [unrolled: 1-line block ×16, first 2 shown]
	v_fmac_f32_e32 v83, v63, v28
	v_fmac_f32_e32 v85, v59, v30
	v_fma_f32 v57, v70, v12, -v86
	v_fmac_f32_e32 v77, v71, v12
	v_fma_f32 v56, v66, v14, -v87
	;; [unrolled: 2-line block ×5, first 2 shown]
	v_fma_f32 v58, v58, v30, -v84
	v_fma_f32 v40, v46, v48, -v119
	v_fmac_f32_e32 v120, v47, v48
	v_fma_f32 v46, v42, v50, -v134
	v_fmac_f32_e32 v135, v43, v50
	v_add_f32_e32 v71, v83, v85
	v_add_f32_e32 v78, v57, v56
	;; [unrolled: 1-line block ×9, first 2 shown]
	v_sub_f32_e32 v137, v120, v135
	v_add_f32_e32 v138, v27, v120
	v_add_f32_e32 v120, v120, v135
	;; [unrolled: 1-line block ×3, first 2 shown]
	v_sub_f32_e32 v59, v79, v81
	v_add_f32_e32 v43, v33, v79
	v_add_f32_e32 v63, v34, v62
	v_sub_f32_e32 v67, v83, v85
	v_add_f32_e32 v70, v35, v83
	v_sub_f32_e32 v62, v62, v58
	v_sub_f32_e32 v79, v77, v76
	;; [unrolled: 1-line block ×3, first 2 shown]
	v_add_f32_e32 v83, v24, v44
	v_sub_f32_e32 v86, v116, v118
	v_add_f32_e32 v87, v25, v116
	v_sub_f32_e32 v119, v44, v45
	v_fmac_f32_e32 v35, -0.5, v71
	v_fma_f32 v115, -0.5, v78, v68
	v_fma_f32 v116, -0.5, v80, v69
	v_fma_f32 v24, -0.5, v84, v24
	v_fma_f32 v25, -0.5, v117, v25
	v_sub_f32_e32 v60, v60, v61
	v_add_f32_e32 v134, v26, v40
	v_sub_f32_e32 v139, v40, v46
	v_fma_f32 v32, -0.5, v42, v32
	v_fma_f32 v33, -0.5, v47, v33
	;; [unrolled: 1-line block ×4, first 2 shown]
	v_fmac_f32_e32 v27, -0.5, v120
	v_add_f32_e32 v40, v41, v61
	v_add_f32_e32 v42, v63, v58
	;; [unrolled: 1-line block ×4, first 2 shown]
	v_fmamk_f32 v61, v62, 0xbf5db3d7, v35
	v_fmac_f32_e32 v35, 0x3f5db3d7, v62
	v_fmamk_f32 v117, v79, 0x3f5db3d7, v115
	v_fmac_f32_e32 v115, 0xbf5db3d7, v79
	v_fmamk_f32 v118, v82, 0xbf5db3d7, v116
	v_fmamk_f32 v62, v86, 0x3f5db3d7, v24
	;; [unrolled: 1-line block ×3, first 2 shown]
	v_fmac_f32_e32 v116, 0x3f5db3d7, v82
	v_fmac_f32_e32 v24, 0xbf5db3d7, v86
	;; [unrolled: 1-line block ×3, first 2 shown]
	v_add_f32_e32 v46, v134, v46
	v_add_f32_e32 v47, v138, v135
	v_fmamk_f32 v58, v59, 0x3f5db3d7, v32
	v_fmac_f32_e32 v32, 0xbf5db3d7, v59
	v_fmamk_f32 v59, v60, 0xbf5db3d7, v33
	v_fmac_f32_e32 v33, 0x3f5db3d7, v60
	;; [unrolled: 2-line block ×3, first 2 shown]
	v_fmamk_f32 v66, v137, 0x3f5db3d7, v26
	v_fmamk_f32 v67, v139, 0xbf5db3d7, v27
	v_fmac_f32_e32 v26, 0xbf5db3d7, v137
	v_fmac_f32_e32 v27, 0x3f5db3d7, v139
	v_add_f32_e32 v41, v43, v81
	v_add_f32_e32 v43, v70, v85
	ds_write2_b64 v133, v[44:45], v[62:63] offset1:39
	ds_write_b64 v133, v[24:25] offset:624
	ds_write2_b64 v132, v[46:47], v[66:67] offset1:39
	ds_write_b64 v132, v[26:27] offset:624
	;; [unrolled: 2-line block ×4, first 2 shown]
	s_and_saveexec_b32 s0, vcc_lo
	s_cbranch_execz .LBB0_9
; %bb.8:
	v_add_f32_e32 v24, v69, v77
	v_add_f32_e32 v26, v68, v57
	v_lshlrev_b32_sdwa v27, v75, v129 dst_sel:DWORD dst_unused:UNUSED_PAD src0_sel:DWORD src1_sel:WORD_0
	v_add_f32_e32 v25, v24, v76
	v_add_f32_e32 v24, v26, v56
	v_add_nc_u32_e32 v26, 0x2800, v27
	ds_write2_b64 v26, v[24:25], v[117:118] offset0:124 offset1:163
	ds_write_b64 v27, v[115:116] offset:11856
.LBB0_9:
	s_or_b32 exec_lo, exec_lo, s0
	v_mad_u64_u32 v[32:33], null, 0x60, v122, s[2:3]
	s_waitcnt lgkmcnt(0)
	s_barrier
	buffer_gl0_inv
	v_add_nc_u32_e32 v66, 0x400, v121
	v_add_nc_u32_e32 v67, 0xc00, v121
	v_add_nc_u32_e32 v76, 0x1c00, v121
	s_clause 0x5
	global_load_dwordx4 v[60:63], v[32:33], off offset:832
	global_load_dwordx4 v[56:59], v[32:33], off offset:848
	;; [unrolled: 1-line block ×6, first 2 shown]
	ds_read2_b64 v[77:80], v66 offset0:106 offset1:223
	ds_read2_b64 v[81:84], v67 offset0:84 offset1:201
	v_add_nc_u32_e32 v75, 0x1400, v121
	ds_read2_b64 v[139:142], v76 offset0:40 offset1:157
	ds_read2_b64 v[158:161], v121 offset1:117
	v_add_nc_u32_e32 v134, 0x2400, v121
	ds_read2_b64 v[135:138], v75 offset0:62 offset1:179
	ds_read2_b64 v[143:146], v134 offset0:18 offset1:135
	s_waitcnt vmcnt(5) lgkmcnt(5)
	v_mul_f32_e32 v85, v78, v63
	v_mul_f32_e32 v68, v77, v63
	s_waitcnt vmcnt(4)
	v_mul_f32_e32 v86, v80, v57
	s_waitcnt lgkmcnt(4)
	v_mul_f32_e32 v87, v82, v59
	v_mul_f32_e32 v69, v79, v57
	v_fma_f32 v77, v77, v62, -v85
	v_fmac_f32_e32 v68, v78, v62
	v_fma_f32 v78, v79, v56, -v86
	v_fma_f32 v79, v81, v58, -v87
	s_waitcnt vmcnt(2) lgkmcnt(3)
	v_mul_f32_e32 v87, v140, v27
	v_mul_f32_e32 v85, v139, v27
	;; [unrolled: 1-line block ×5, first 2 shown]
	v_fma_f32 v87, v139, v26, -v87
	v_fmac_f32_e32 v85, v140, v26
	ds_read_b64 v[139:140], v121 offset:11232
	v_fmac_f32_e32 v70, v82, v58
	s_waitcnt lgkmcnt(2)
	v_mul_f32_e32 v82, v137, v25
	v_fmac_f32_e32 v69, v80, v56
	v_fma_f32 v80, v83, v40, -v119
	v_fmac_f32_e32 v71, v84, v40
	v_mul_f32_e32 v84, v138, v25
	v_fmac_f32_e32 v82, v138, v24
	s_waitcnt vmcnt(1)
	v_mul_f32_e32 v119, v142, v45
	v_mul_f32_e32 v86, v141, v45
	;; [unrolled: 1-line block ×4, first 2 shown]
	v_fma_f32 v84, v137, v24, -v84
	v_fma_f32 v119, v141, v44, -v119
	v_fmac_f32_e32 v86, v142, v44
	v_fma_f32 v83, v135, v42, -v83
	v_fmac_f32_e32 v81, v136, v42
	s_waitcnt lgkmcnt(1)
	v_mul_f32_e32 v136, v144, v47
	v_mul_f32_e32 v120, v143, v47
	s_waitcnt vmcnt(0)
	v_mul_f32_e32 v137, v146, v33
	s_waitcnt lgkmcnt(0)
	v_mul_f32_e32 v138, v139, v35
	v_mul_f32_e32 v141, v140, v35
	;; [unrolled: 1-line block ×3, first 2 shown]
	v_fma_f32 v136, v143, v46, -v136
	v_fmac_f32_e32 v120, v144, v46
	v_fmac_f32_e32 v138, v140, v34
	v_mul_f32_e32 v140, v160, v61
	v_fma_f32 v139, v139, v34, -v141
	v_mul_f32_e32 v141, v161, v61
	v_fma_f32 v137, v145, v32, -v137
	v_fmac_f32_e32 v135, v146, v32
	v_fmac_f32_e32 v140, v161, v60
	v_sub_f32_e32 v179, v70, v86
	v_fma_f32 v141, v160, v60, -v141
	v_add_f32_e32 v182, v70, v86
	v_add_f32_e32 v185, v80, v87
	v_sub_f32_e32 v142, v140, v138
	v_add_f32_e32 v160, v140, v138
	v_add_f32_e32 v148, v141, v139
	;; [unrolled: 1-line block ×4, first 2 shown]
	v_mul_f32_e32 v143, 0xbeedf032, v142
	v_mul_f32_e32 v144, 0xbf52af12, v142
	;; [unrolled: 1-line block ×6, first 2 shown]
	v_fma_f32 v149, 0x3f62ad3f, v148, -v143
	v_fmac_f32_e32 v143, 0x3f62ad3f, v148
	v_fma_f32 v150, 0x3f116cb1, v148, -v144
	v_fmac_f32_e32 v144, 0x3f116cb1, v148
	;; [unrolled: 2-line block ×6, first 2 shown]
	v_sub_f32_e32 v148, v141, v139
	v_add_f32_e32 v177, v158, v149
	v_sub_f32_e32 v149, v68, v135
	v_add_f32_e32 v165, v158, v143
	v_add_f32_e32 v163, v158, v150
	v_mul_f32_e32 v153, 0xbeedf032, v148
	v_mul_f32_e32 v155, 0xbf7e222b, v148
	;; [unrolled: 1-line block ×5, first 2 shown]
	v_fmamk_f32 v161, v160, 0x3f62ad3f, v153
	v_fma_f32 v153, 0x3f62ad3f, v160, -v153
	v_fmamk_f32 v168, v160, 0x3df6dbef, v155
	v_mul_f32_e32 v148, 0xbe750f2a, v148
	v_fma_f32 v155, 0x3df6dbef, v160, -v155
	v_fmamk_f32 v171, v160, 0xbeb58ec6, v156
	v_fma_f32 v172, 0xbeb58ec6, v160, -v156
	v_add_f32_e32 v164, v159, v153
	v_add_f32_e32 v156, v159, v168
	;; [unrolled: 1-line block ×5, first 2 shown]
	v_mul_f32_e32 v168, 0xbf52af12, v149
	v_fmamk_f32 v162, v160, 0x3f116cb1, v154
	v_fma_f32 v154, 0x3f116cb1, v160, -v154
	v_fmamk_f32 v173, v160, 0xbf3f9e67, v157
	v_fma_f32 v174, 0xbf3f9e67, v160, -v157
	;; [unrolled: 2-line block ×3, first 2 shown]
	v_add_f32_e32 v178, v159, v161
	v_add_f32_e32 v161, v158, v144
	;; [unrolled: 1-line block ×9, first 2 shown]
	v_fma_f32 v158, 0x3f116cb1, v142, -v168
	v_sub_f32_e32 v166, v77, v137
	v_add_f32_e32 v160, v159, v154
	v_add_f32_e32 v154, v159, v171
	;; [unrolled: 1-line block ×5, first 2 shown]
	v_mul_f32_e32 v175, 0xbf52af12, v166
	v_add_f32_e32 v162, v159, v162
	v_add_f32_e32 v152, v159, v172
	v_add_f32_e32 v150, v159, v173
	v_add_f32_e32 v143, v159, v174
	v_add_f32_e32 v145, v159, v176
	v_fmamk_f32 v159, v158, 0x3f116cb1, v175
	v_sub_f32_e32 v167, v69, v120
	v_sub_f32_e32 v177, v78, v136
	v_mul_f32_e32 v180, 0xbf6f5d39, v179
	v_add_f32_e32 v77, v169, v77
	v_add_f32_e32 v172, v159, v178
	;; [unrolled: 1-line block ×3, first 2 shown]
	v_mul_f32_e32 v176, 0xbf7e222b, v167
	v_mul_f32_e32 v178, 0xbf7e222b, v177
	v_add_f32_e32 v68, v170, v68
	v_add_f32_e32 v77, v77, v78
	;; [unrolled: 1-line block ×3, first 2 shown]
	v_fma_f32 v173, 0x3df6dbef, v159, -v176
	v_add_f32_e32 v191, v83, v84
	v_add_f32_e32 v68, v68, v69
	;; [unrolled: 1-line block ×3, first 2 shown]
	v_mul_f32_e32 v78, 0xbf6f5d39, v166
	v_add_f32_e32 v173, v173, v171
	v_add_f32_e32 v171, v69, v120
	;; [unrolled: 1-line block ×4, first 2 shown]
	v_mul_f32_e32 v77, 0xbf6f5d39, v149
	v_fmac_f32_e32 v168, 0x3f116cb1, v142
	v_fmamk_f32 v174, v171, 0x3df6dbef, v178
	v_add_f32_e32 v69, v69, v80
	v_add_f32_e32 v68, v68, v71
	v_fmac_f32_e32 v176, 0x3df6dbef, v159
	v_add_f32_e32 v174, v174, v172
	v_add_f32_e32 v172, v79, v119
	;; [unrolled: 1-line block ×4, first 2 shown]
	v_fma_f32 v181, 0xbeb58ec6, v172, -v180
	v_add_f32_e32 v69, v69, v84
	v_add_f32_e32 v68, v68, v82
	v_fmac_f32_e32 v180, 0xbeb58ec6, v172
	v_add_f32_e32 v173, v181, v173
	v_sub_f32_e32 v181, v79, v119
	v_add_f32_e32 v69, v69, v87
	v_add_f32_e32 v68, v68, v85
	v_mul_f32_e32 v79, 0xbe750f2a, v167
	v_mul_f32_e32 v183, 0xbf6f5d39, v181
	v_add_f32_e32 v69, v69, v119
	v_add_f32_e32 v68, v68, v86
	v_fmamk_f32 v184, v182, 0xbeb58ec6, v183
	v_add_f32_e32 v69, v69, v136
	v_add_f32_e32 v68, v68, v120
	;; [unrolled: 1-line block ×3, first 2 shown]
	v_sub_f32_e32 v184, v71, v85
	v_add_f32_e32 v69, v69, v137
	v_add_f32_e32 v70, v68, v135
	v_fmamk_f32 v71, v158, 0xbeb58ec6, v78
	v_fma_f32 v78, 0xbeb58ec6, v158, -v78
	v_mul_f32_e32 v186, 0xbf29c268, v184
	v_add_f32_e32 v68, v69, v139
	v_add_f32_e32 v69, v70, v138
	v_fma_f32 v70, 0x3df6dbef, v171, -v178
	v_add_f32_e32 v71, v71, v162
	v_fma_f32 v187, 0xbf3f9e67, v185, -v186
	v_add_f32_e32 v78, v78, v160
	v_mul_f32_e32 v139, 0xbe750f2a, v166
	v_mul_f32_e32 v160, 0x3eedf032, v179
	;; [unrolled: 1-line block ×3, first 2 shown]
	v_add_f32_e32 v173, v187, v173
	v_sub_f32_e32 v187, v80, v87
	v_fma_f32 v80, 0xbf788fa5, v159, -v79
	v_fmac_f32_e32 v79, 0xbf788fa5, v159
	v_fmac_f32_e32 v186, 0xbf3f9e67, v185
	v_mul_f32_e32 v189, 0xbf29c268, v187
	v_fmamk_f32 v190, v188, 0xbf3f9e67, v189
	v_add_f32_e32 v174, v190, v174
	v_sub_f32_e32 v190, v81, v82
	v_mul_f32_e32 v192, 0xbe750f2a, v190
	v_fma_f32 v193, 0xbf788fa5, v191, -v192
	v_fmac_f32_e32 v192, 0xbf788fa5, v191
	v_add_f32_e32 v173, v193, v173
	v_sub_f32_e32 v193, v83, v84
	v_mul_f32_e32 v195, 0xbe750f2a, v193
	v_mul_f32_e32 v169, 0xbf6f5d39, v193
	v_fmamk_f32 v196, v194, 0xbf788fa5, v195
	v_add_f32_e32 v174, v196, v174
	ds_write2_b64 v121, v[68:69], v[173:174] offset1:117
	v_fma_f32 v69, 0x3f116cb1, v158, -v175
	v_add_f32_e32 v68, v168, v165
	v_mul_f32_e32 v165, 0xbf29c268, v193
	v_mul_f32_e32 v168, 0xbf6f5d39, v190
	;; [unrolled: 1-line block ×3, first 2 shown]
	v_add_f32_e32 v69, v69, v164
	v_mul_f32_e32 v164, 0xbf29c268, v190
	v_add_f32_e32 v68, v176, v68
	v_add_f32_e32 v69, v70, v69
	v_fma_f32 v70, 0xbeb58ec6, v182, -v183
	v_add_f32_e32 v68, v180, v68
	v_add_f32_e32 v69, v70, v69
	v_fma_f32 v70, 0xbf3f9e67, v188, -v189
	;; [unrolled: 3-line block ×4, first 2 shown]
	v_fmac_f32_e32 v77, 0xbeb58ec6, v142
	v_add_f32_e32 v70, v70, v163
	v_add_f32_e32 v77, v77, v161
	v_mul_f32_e32 v161, 0x3eedf032, v181
	v_mul_f32_e32 v163, 0xbf52af12, v187
	v_add_f32_e32 v70, v80, v70
	v_mul_f32_e32 v80, 0xbe750f2a, v177
	v_add_f32_e32 v77, v79, v77
	v_fmamk_f32 v81, v171, 0xbf788fa5, v80
	v_fma_f32 v79, 0xbf788fa5, v171, -v80
	v_fmamk_f32 v80, v158, 0xbf788fa5, v139
	v_fma_f32 v139, 0xbf788fa5, v158, -v139
	v_add_f32_e32 v71, v81, v71
	v_mul_f32_e32 v81, 0x3f29c268, v179
	v_add_f32_e32 v78, v79, v78
	v_add_f32_e32 v80, v80, v156
	v_mul_f32_e32 v156, 0x3f6f5d39, v167
	v_add_f32_e32 v139, v139, v141
	v_fma_f32 v82, 0xbf3f9e67, v172, -v81
	v_fmac_f32_e32 v81, 0xbf3f9e67, v172
	v_fma_f32 v141, 0x3f116cb1, v188, -v163
	v_add_f32_e32 v70, v82, v70
	v_mul_f32_e32 v82, 0x3f29c268, v181
	v_add_f32_e32 v77, v81, v77
	v_fma_f32 v81, 0xbeb58ec6, v159, -v156
	v_fmac_f32_e32 v156, 0xbeb58ec6, v159
	v_fmamk_f32 v83, v182, 0xbf3f9e67, v82
	v_fma_f32 v79, 0xbf3f9e67, v182, -v82
	v_add_f32_e32 v71, v83, v71
	v_mul_f32_e32 v83, 0x3f7e222b, v184
	v_add_f32_e32 v78, v79, v78
	v_fma_f32 v84, 0x3df6dbef, v185, -v83
	v_fmac_f32_e32 v83, 0x3df6dbef, v185
	v_add_f32_e32 v70, v84, v70
	v_mul_f32_e32 v84, 0x3f7e222b, v187
	v_add_f32_e32 v77, v83, v77
	v_mul_f32_e32 v83, 0x3f29c268, v149
	v_fmamk_f32 v85, v188, 0x3df6dbef, v84
	v_fma_f32 v79, 0x3df6dbef, v188, -v84
	v_mul_f32_e32 v84, 0x3f29c268, v166
	v_add_f32_e32 v71, v85, v71
	v_mul_f32_e32 v85, 0x3eedf032, v190
	v_add_f32_e32 v78, v79, v78
	v_fmamk_f32 v82, v158, 0xbf3f9e67, v84
	v_fma_f32 v84, 0xbf3f9e67, v158, -v84
	v_fma_f32 v86, 0x3f62ad3f, v191, -v85
	v_fmac_f32_e32 v85, 0x3f62ad3f, v191
	v_add_f32_e32 v82, v82, v154
	v_add_f32_e32 v84, v84, v152
	v_mul_f32_e32 v152, 0x3e750f2a, v179
	v_add_f32_e32 v70, v86, v70
	v_mul_f32_e32 v86, 0x3eedf032, v193
	;; [unrolled: 2-line block ×3, first 2 shown]
	v_fmamk_f32 v87, v194, 0x3f62ad3f, v86
	v_fma_f32 v79, 0x3f62ad3f, v194, -v86
	v_fma_f32 v86, 0x3f62ad3f, v159, -v85
	v_fmac_f32_e32 v85, 0x3f62ad3f, v159
	v_add_f32_e32 v71, v87, v71
	v_mul_f32_e32 v87, 0xbe750f2a, v149
	v_add_f32_e32 v78, v79, v78
	v_fma_f32 v79, 0xbf788fa5, v142, -v87
	v_fmac_f32_e32 v87, 0xbf788fa5, v142
	v_add_f32_e32 v79, v79, v157
	v_mul_f32_e32 v157, 0x3f6f5d39, v177
	v_add_f32_e32 v87, v87, v140
	v_fma_f32 v140, 0x3f62ad3f, v182, -v161
	v_add_f32_e32 v79, v81, v79
	v_fmamk_f32 v81, v171, 0xbeb58ec6, v157
	v_add_f32_e32 v87, v156, v87
	v_add_f32_e32 v80, v81, v80
	v_fma_f32 v81, 0x3f62ad3f, v172, -v160
	v_fmac_f32_e32 v160, 0x3f62ad3f, v172
	v_add_f32_e32 v79, v81, v79
	v_fmamk_f32 v81, v182, 0x3f62ad3f, v161
	v_add_f32_e32 v87, v160, v87
	v_add_f32_e32 v80, v81, v80
	v_fma_f32 v81, 0x3f116cb1, v185, -v162
	v_fmac_f32_e32 v162, 0x3f116cb1, v185
	;; [unrolled: 6-line block ×3, first 2 shown]
	v_add_f32_e32 v79, v81, v79
	v_fmamk_f32 v81, v194, 0xbf3f9e67, v165
	v_add_f32_e32 v80, v81, v80
	v_fma_f32 v81, 0xbf3f9e67, v142, -v83
	v_fmac_f32_e32 v83, 0xbf3f9e67, v142
	v_add_f32_e32 v81, v81, v155
	v_add_f32_e32 v83, v83, v153
	v_mul_f32_e32 v153, 0x3e750f2a, v181
	v_mul_f32_e32 v155, 0x3eedf032, v187
	v_add_f32_e32 v81, v86, v81
	v_mul_f32_e32 v86, 0x3eedf032, v177
	v_add_f32_e32 v83, v85, v83
	v_fmamk_f32 v119, v171, 0x3f62ad3f, v86
	v_fma_f32 v85, 0x3f62ad3f, v171, -v86
	v_add_f32_e32 v82, v119, v82
	v_mul_f32_e32 v119, 0xbf7e222b, v179
	v_add_f32_e32 v84, v85, v84
	v_fma_f32 v120, 0x3df6dbef, v172, -v119
	v_fmac_f32_e32 v119, 0x3df6dbef, v172
	v_add_f32_e32 v81, v120, v81
	v_mul_f32_e32 v120, 0xbf7e222b, v181
	v_add_f32_e32 v83, v119, v83
	v_fmamk_f32 v135, v182, 0x3df6dbef, v120
	v_fma_f32 v85, 0x3df6dbef, v182, -v120
	v_add_f32_e32 v82, v135, v82
	v_mul_f32_e32 v135, 0x3e750f2a, v184
	v_add_f32_e32 v84, v85, v84
	v_fma_f32 v136, 0xbf788fa5, v185, -v135
	v_fmac_f32_e32 v135, 0xbf788fa5, v185
	v_add_f32_e32 v81, v136, v81
	v_mul_f32_e32 v136, 0x3e750f2a, v187
	v_add_f32_e32 v83, v135, v83
	v_mul_f32_e32 v135, 0x3eedf032, v149
	v_fmamk_f32 v137, v188, 0xbf788fa5, v136
	v_fma_f32 v85, 0xbf788fa5, v188, -v136
	v_mul_f32_e32 v136, 0x3eedf032, v166
	v_add_f32_e32 v82, v137, v82
	v_mul_f32_e32 v137, 0x3f52af12, v190
	v_add_f32_e32 v84, v85, v84
	v_fmamk_f32 v120, v158, 0x3f62ad3f, v136
	v_fma_f32 v136, 0x3f62ad3f, v158, -v136
	v_fma_f32 v138, 0x3f116cb1, v191, -v137
	v_fmac_f32_e32 v137, 0x3f116cb1, v191
	v_add_f32_e32 v120, v120, v147
	v_mul_f32_e32 v147, 0xbf29c268, v167
	v_add_f32_e32 v136, v136, v145
	v_add_f32_e32 v81, v138, v81
	v_mul_f32_e32 v138, 0x3f52af12, v193
	v_add_f32_e32 v83, v137, v83
	v_mul_f32_e32 v137, 0x3f7e222b, v149
	v_fmamk_f32 v154, v194, 0x3f116cb1, v138
	v_fma_f32 v85, 0x3f116cb1, v194, -v138
	v_mul_f32_e32 v138, 0x3f7e222b, v166
	v_add_f32_e32 v82, v154, v82
	v_add_f32_e32 v84, v85, v84
	v_fmamk_f32 v86, v158, 0x3df6dbef, v138
	v_fma_f32 v85, 0x3df6dbef, v142, -v137
	v_mul_f32_e32 v154, 0x3eedf032, v184
	v_fmac_f32_e32 v137, 0x3df6dbef, v142
	v_fma_f32 v138, 0x3df6dbef, v158, -v138
	v_add_f32_e32 v86, v86, v150
	v_mul_f32_e32 v150, 0xbf52af12, v167
	v_add_f32_e32 v85, v85, v151
	v_mul_f32_e32 v151, 0xbf52af12, v177
	v_add_f32_e32 v137, v137, v144
	v_add_f32_e32 v138, v138, v143
	v_fma_f32 v119, 0x3f116cb1, v159, -v150
	v_fmac_f32_e32 v150, 0x3f116cb1, v159
	v_fma_f32 v143, 0x3f116cb1, v171, -v151
	v_add_f32_e32 v85, v119, v85
	v_fmamk_f32 v119, v171, 0x3f116cb1, v151
	v_add_f32_e32 v137, v150, v137
	v_add_f32_e32 v138, v143, v138
	v_fma_f32 v143, 0xbf788fa5, v182, -v153
	v_add_f32_e32 v86, v119, v86
	v_fma_f32 v119, 0xbf788fa5, v172, -v152
	v_fmac_f32_e32 v152, 0xbf788fa5, v172
	v_add_f32_e32 v138, v143, v138
	v_fma_f32 v143, 0x3f62ad3f, v188, -v155
	v_add_f32_e32 v85, v119, v85
	v_fmamk_f32 v119, v182, 0xbf788fa5, v153
	v_add_f32_e32 v137, v152, v137
	v_add_f32_e32 v138, v143, v138
	v_fma_f32 v143, 0xbeb58ec6, v194, -v169
	v_add_f32_e32 v86, v119, v86
	v_fma_f32 v119, 0x3f62ad3f, v185, -v154
	v_fmac_f32_e32 v154, 0x3f62ad3f, v185
	v_add_f32_e32 v138, v143, v138
	v_add_f32_e32 v85, v119, v85
	v_fmamk_f32 v119, v188, 0x3f62ad3f, v155
	v_add_f32_e32 v137, v154, v137
	v_add_f32_e32 v86, v119, v86
	v_fma_f32 v119, 0xbeb58ec6, v191, -v168
	v_fmac_f32_e32 v168, 0xbeb58ec6, v191
	v_add_f32_e32 v85, v119, v85
	v_fmamk_f32 v119, v194, 0xbeb58ec6, v169
	v_add_f32_e32 v137, v168, v137
	v_add_f32_e32 v86, v119, v86
	v_fma_f32 v119, 0x3f62ad3f, v142, -v135
	v_fmac_f32_e32 v135, 0x3f62ad3f, v142
	v_fma_f32 v142, 0xbeb58ec6, v171, -v157
	v_add_f32_e32 v119, v119, v148
	v_fma_f32 v148, 0xbf3f9e67, v159, -v147
	v_add_f32_e32 v135, v135, v146
	v_fmac_f32_e32 v147, 0xbf3f9e67, v159
	v_add_f32_e32 v139, v142, v139
	v_add_f32_e32 v119, v148, v119
	v_mul_f32_e32 v148, 0xbf29c268, v177
	v_add_f32_e32 v135, v147, v135
	v_add_f32_e32 v139, v140, v139
	v_fmamk_f32 v149, v171, 0xbf3f9e67, v148
	v_fma_f32 v145, 0xbf3f9e67, v171, -v148
	v_add_f32_e32 v140, v141, v139
	v_fma_f32 v141, 0xbf3f9e67, v194, -v165
	v_add_f32_e32 v139, v164, v87
	v_add_f32_e32 v120, v149, v120
	v_mul_f32_e32 v149, 0x3f52af12, v179
	v_add_f32_e32 v136, v145, v136
	v_add_f32_e32 v140, v141, v140
	v_fma_f32 v166, 0x3f116cb1, v172, -v149
	v_fmac_f32_e32 v149, 0x3f116cb1, v172
	v_add_f32_e32 v119, v166, v119
	v_mul_f32_e32 v166, 0x3f52af12, v181
	v_add_f32_e32 v135, v149, v135
	v_fmamk_f32 v167, v182, 0x3f116cb1, v166
	v_fma_f32 v145, 0x3f116cb1, v182, -v166
	v_add_f32_e32 v120, v167, v120
	v_mul_f32_e32 v167, 0xbf6f5d39, v184
	v_add_f32_e32 v136, v145, v136
	v_fma_f32 v170, 0xbeb58ec6, v185, -v167
	v_fmac_f32_e32 v167, 0xbeb58ec6, v185
	v_add_f32_e32 v119, v170, v119
	v_mul_f32_e32 v170, 0xbf6f5d39, v187
	v_add_f32_e32 v135, v167, v135
	v_fmamk_f32 v173, v188, 0xbeb58ec6, v170
	v_fma_f32 v145, 0xbeb58ec6, v188, -v170
	v_add_f32_e32 v120, v173, v120
	v_mul_f32_e32 v173, 0x3f7e222b, v190
	v_add_f32_e32 v136, v145, v136
	v_fma_f32 v145, 0x3df6dbef, v194, -v174
	v_fma_f32 v175, 0x3df6dbef, v191, -v173
	v_fmac_f32_e32 v173, 0x3df6dbef, v191
	v_add_f32_e32 v136, v145, v136
	v_add_f32_e32 v119, v175, v119
	v_fmamk_f32 v175, v194, 0x3df6dbef, v174
	v_add_f32_e32 v135, v173, v135
	v_add_f32_e32 v120, v175, v120
	ds_write2_b64 v66, v[70:71], v[79:80] offset0:106 offset1:223
	ds_write2_b64 v67, v[81:82], v[85:86] offset0:84 offset1:201
	;; [unrolled: 1-line block ×5, first 2 shown]
	ds_write_b64 v121, v[68:69] offset:11232
	v_add_co_u32 v68, s0, 0x2f88, v72
	v_add_co_ci_u32_e64 v69, s0, 0, v73, s0
	s_waitcnt lgkmcnt(0)
	s_barrier
	buffer_gl0_inv
	s_clause 0x2
	global_load_dwordx2 v[64:65], v[64:65], off offset:1928
	global_load_dwordx2 v[77:78], v[68:69], off offset:936
	global_load_dwordx2 v[79:80], v[68:69], off offset:1872
	v_add_co_u32 v68, s0, 0x3800, v72
	v_add_co_ci_u32_e64 v69, s0, 0, v73, s0
	s_clause 0x1
	global_load_dwordx2 v[81:82], v[68:69], off offset:640
	global_load_dwordx2 v[83:84], v[68:69], off offset:1576
	v_add_co_u32 v68, s0, 0x4000, v72
	v_add_co_ci_u32_e64 v69, s0, 0, v73, s0
	s_clause 0x1
	global_load_dwordx2 v[85:86], v[68:69], off offset:464
	global_load_dwordx2 v[119:120], v[68:69], off offset:1400
	v_add_co_u32 v135, s0, 0x4800, v72
	v_add_co_ci_u32_e64 v136, s0, 0, v73, s0
	ds_read2_b64 v[68:71], v121 offset1:117
	s_clause 0x1
	global_load_dwordx2 v[137:138], v[135:136], off offset:288
	global_load_dwordx2 v[135:136], v[135:136], off offset:1224
	s_waitcnt vmcnt(8) lgkmcnt(0)
	v_mul_f32_e32 v87, v69, v65
	v_mul_f32_e32 v140, v68, v65
	s_waitcnt vmcnt(7)
	v_mul_f32_e32 v141, v71, v78
	v_mul_f32_e32 v65, v70, v78
	v_fma_f32 v139, v68, v64, -v87
	v_add_co_u32 v68, s0, 0x5000, v72
	v_fmac_f32_e32 v140, v69, v64
	v_add_co_ci_u32_e64 v69, s0, 0, v73, s0
	v_fma_f32 v64, v70, v77, -v141
	v_fmac_f32_e32 v65, v71, v77
	s_clause 0x2
	global_load_dwordx2 v[77:78], v[68:69], off offset:112
	global_load_dwordx2 v[141:142], v[68:69], off offset:1048
	;; [unrolled: 1-line block ×3, first 2 shown]
	v_add_co_u32 v68, s0, 0x5800, v72
	v_add_co_ci_u32_e64 v69, s0, 0, v73, s0
	ds_write2_b64 v121, v[139:140], v[64:65] offset1:117
	global_load_dwordx2 v[72:73], v[68:69], off offset:872
	ds_read2_b64 v[68:71], v66 offset0:106 offset1:223
	s_waitcnt vmcnt(10) lgkmcnt(0)
	v_mul_f32_e32 v64, v69, v80
	v_mul_f32_e32 v65, v68, v80
	s_waitcnt vmcnt(9)
	v_mul_f32_e32 v80, v70, v82
	v_fma_f32 v64, v68, v79, -v64
	v_mul_f32_e32 v68, v71, v82
	v_fmac_f32_e32 v65, v69, v79
	v_fmac_f32_e32 v80, v71, v81
	v_fma_f32 v79, v70, v81, -v68
	ds_read2_b64 v[68:71], v67 offset0:84 offset1:201
	s_waitcnt vmcnt(8) lgkmcnt(0)
	v_mul_f32_e32 v81, v69, v84
	v_mul_f32_e32 v82, v68, v84
	s_waitcnt vmcnt(7)
	v_mul_f32_e32 v84, v70, v86
	v_fma_f32 v81, v68, v83, -v81
	v_mul_f32_e32 v68, v71, v86
	v_fmac_f32_e32 v82, v69, v83
	v_fmac_f32_e32 v84, v71, v85
	v_fma_f32 v83, v70, v85, -v68
	;; [unrolled: 11-line block ×3, first 2 shown]
	ds_read2_b64 v[68:71], v76 offset0:40 offset1:157
	s_waitcnt vmcnt(4) lgkmcnt(0)
	v_mul_f32_e32 v87, v69, v136
	v_mul_f32_e32 v138, v68, v136
	v_fma_f32 v137, v68, v135, -v87
	v_fmac_f32_e32 v138, v69, v135
	s_waitcnt vmcnt(3)
	v_mul_f32_e32 v68, v71, v78
	v_mul_f32_e32 v136, v70, v78
	v_fma_f32 v135, v70, v77, -v68
	v_fmac_f32_e32 v136, v71, v77
	ds_read2_b64 v[68:71], v134 offset0:18 offset1:135
	s_waitcnt vmcnt(2) lgkmcnt(0)
	v_mul_f32_e32 v77, v69, v142
	v_mul_f32_e32 v78, v68, v142
	v_fma_f32 v77, v68, v141, -v77
	v_fmac_f32_e32 v78, v69, v141
	s_waitcnt vmcnt(1)
	v_mul_f32_e32 v68, v71, v144
	v_mul_f32_e32 v69, v70, v144
	v_fma_f32 v68, v70, v143, -v68
	v_fmac_f32_e32 v69, v71, v143
	ds_read_b64 v[70:71], v121 offset:11232
	s_waitcnt vmcnt(0) lgkmcnt(0)
	v_mul_f32_e32 v87, v71, v73
	v_mul_f32_e32 v140, v70, v73
	v_fma_f32 v139, v70, v72, -v87
	v_fmac_f32_e32 v140, v71, v72
	ds_write2_b64 v66, v[64:65], v[79:80] offset0:106 offset1:223
	ds_write2_b64 v67, v[81:82], v[83:84] offset0:84 offset1:201
	;; [unrolled: 1-line block ×5, first 2 shown]
	ds_write_b64 v121, v[139:140] offset:11232
	s_waitcnt lgkmcnt(0)
	s_barrier
	buffer_gl0_inv
	ds_read2_b64 v[135:138], v121 offset1:117
	ds_read_b64 v[64:65], v121 offset:11232
	s_waitcnt lgkmcnt(0)
	v_sub_f32_e32 v68, v138, v65
	v_add_f32_e32 v69, v65, v138
	v_add_f32_e32 v70, v64, v137
	v_sub_f32_e32 v71, v137, v64
	v_mul_f32_e32 v72, 0xbeedf032, v68
	v_mul_f32_e32 v73, 0x3f62ad3f, v69
	;; [unrolled: 1-line block ×12, first 2 shown]
	v_fmamk_f32 v84, v70, 0x3f62ad3f, v72
	v_fmamk_f32 v85, v71, 0x3eedf032, v73
	v_fma_f32 v72, 0x3f62ad3f, v70, -v72
	v_fmac_f32_e32 v73, 0xbeedf032, v71
	v_fmamk_f32 v86, v70, 0x3f116cb1, v77
	v_fmamk_f32 v119, v71, 0x3f52af12, v78
	v_fma_f32 v77, 0x3f116cb1, v70, -v77
	v_fmac_f32_e32 v78, 0xbf52af12, v71
	v_fmamk_f32 v120, v70, 0x3df6dbef, v79
	v_fma_f32 v79, 0x3df6dbef, v70, -v79
	v_fmamk_f32 v139, v70, 0xbeb58ec6, v81
	v_fma_f32 v81, 0xbeb58ec6, v70, -v81
	;; [unrolled: 2-line block ×4, first 2 shown]
	v_fmamk_f32 v70, v71, 0x3f7e222b, v80
	v_fmac_f32_e32 v80, 0xbf7e222b, v71
	v_fmamk_f32 v83, v71, 0x3f6f5d39, v82
	v_fmac_f32_e32 v82, 0xbf6f5d39, v71
	v_fmamk_f32 v143, v71, 0x3f29c268, v87
	v_fmac_f32_e32 v87, 0xbf29c268, v71
	v_fmamk_f32 v144, v71, 0x3e750f2a, v69
	v_fmac_f32_e32 v69, 0xbe750f2a, v71
	v_add_f32_e32 v147, v135, v84
	v_add_f32_e32 v148, v136, v85
	;; [unrolled: 1-line block ×26, first 2 shown]
	ds_read2_b64 v[135:138], v66 offset0:106 offset1:223
	ds_read2_b64 v[139:142], v67 offset0:84 offset1:201
	;; [unrolled: 1-line block ×3, first 2 shown]
	s_waitcnt lgkmcnt(2)
	v_add_f32_e32 v70, v70, v135
	v_add_f32_e32 v71, v71, v136
	s_waitcnt lgkmcnt(0)
	v_add_f32_e32 v77, v146, v140
	v_sub_f32_e32 v78, v140, v146
	v_sub_f32_e32 v159, v142, v144
	v_add_f32_e32 v70, v70, v137
	v_add_f32_e32 v71, v71, v138
	;; [unrolled: 1-line block ×4, first 2 shown]
	v_sub_f32_e32 v162, v141, v143
	v_add_f32_e32 v70, v70, v139
	v_add_f32_e32 v71, v71, v140
	;; [unrolled: 1-line block ×5, first 2 shown]
	v_sub_f32_e32 v71, v139, v145
	ds_read2_b64 v[139:142], v75 offset0:62 offset1:179
	s_waitcnt lgkmcnt(0)
	v_add_f32_e32 v87, v87, v139
	v_add_f32_e32 v119, v119, v140
	v_sub_f32_e32 v172, v139, v141
	v_add_f32_e32 v171, v142, v140
	v_add_f32_e32 v87, v87, v141
	;; [unrolled: 1-line block ×7, first 2 shown]
	ds_read2_b64 v[143:146], v134 offset0:18 offset1:135
	s_waitcnt lgkmcnt(0)
	s_barrier
	buffer_gl0_inv
	v_add_f32_e32 v87, v87, v143
	v_sub_f32_e32 v166, v136, v146
	v_add_f32_e32 v119, v119, v144
	v_add_f32_e32 v163, v145, v135
	;; [unrolled: 1-line block ×4, first 2 shown]
	v_sub_f32_e32 v170, v138, v144
	v_add_f32_e32 v119, v119, v146
	v_sub_f32_e32 v165, v135, v145
	v_add_f32_e32 v167, v143, v137
	v_add_f32_e32 v64, v87, v64
	v_mul_f32_e32 v87, 0xbf52af12, v166
	v_add_f32_e32 v168, v144, v138
	v_sub_f32_e32 v169, v137, v143
	v_add_f32_e32 v65, v119, v65
	v_mul_f32_e32 v120, 0x3f116cb1, v164
	v_fmamk_f32 v119, v163, 0x3f116cb1, v87
	v_mul_f32_e32 v137, 0xbf7e222b, v170
	v_mul_f32_e32 v138, 0x3df6dbef, v168
	v_add_f32_e32 v146, v141, v139
	v_fmamk_f32 v135, v165, 0x3f52af12, v120
	v_add_f32_e32 v119, v119, v147
	v_fmamk_f32 v136, v167, 0x3df6dbef, v137
	v_mul_f32_e32 v139, 0xbf6f5d39, v78
	v_sub_f32_e32 v145, v140, v142
	v_add_f32_e32 v135, v135, v148
	v_mul_f32_e32 v140, 0xbeb58ec6, v77
	v_add_f32_e32 v119, v136, v119
	v_fmamk_f32 v136, v169, 0x3f7e222b, v138
	v_mul_f32_e32 v141, 0xbf29c268, v159
	v_mul_f32_e32 v142, 0xbf3f9e67, v161
	;; [unrolled: 1-line block ×4, first 2 shown]
	v_add_f32_e32 v135, v136, v135
	v_fmamk_f32 v136, v70, 0xbeb58ec6, v139
	v_fma_f32 v87, 0x3f116cb1, v163, -v87
	v_fmac_f32_e32 v120, 0xbf52af12, v165
	v_fmac_f32_e32 v138, 0xbf7e222b, v169
	v_add_f32_e32 v119, v136, v119
	v_fmamk_f32 v136, v71, 0x3f6f5d39, v140
	v_add_f32_e32 v87, v87, v149
	v_fmac_f32_e32 v140, 0xbf6f5d39, v71
	v_add_f32_e32 v135, v136, v135
	v_fmamk_f32 v136, v160, 0xbf3f9e67, v141
	v_add_f32_e32 v119, v136, v119
	v_fmamk_f32 v136, v162, 0x3f29c268, v142
	v_fmac_f32_e32 v142, 0xbf29c268, v162
	v_add_f32_e32 v136, v136, v135
	v_fmamk_f32 v135, v146, 0xbf788fa5, v143
	v_add_f32_e32 v135, v135, v119
	v_fmamk_f32 v119, v172, 0x3e750f2a, v144
	v_fmac_f32_e32 v144, 0xbe750f2a, v172
	v_add_f32_e32 v136, v119, v136
	v_add_f32_e32 v119, v120, v150
	v_fma_f32 v120, 0x3df6dbef, v167, -v137
	v_add_f32_e32 v119, v138, v119
	v_add_f32_e32 v87, v120, v87
	v_fma_f32 v120, 0xbeb58ec6, v70, -v139
	v_mul_f32_e32 v139, 0xbeb58ec6, v164
	v_add_f32_e32 v119, v140, v119
	v_mul_f32_e32 v140, 0xbe750f2a, v170
	v_add_f32_e32 v87, v120, v87
	v_fma_f32 v120, 0xbf3f9e67, v160, -v141
	v_fmamk_f32 v138, v165, 0x3f6f5d39, v139
	v_fmac_f32_e32 v139, 0xbf6f5d39, v165
	v_fmamk_f32 v141, v167, 0xbf788fa5, v140
	v_fma_f32 v140, 0xbf788fa5, v167, -v140
	v_add_f32_e32 v87, v120, v87
	v_add_f32_e32 v120, v142, v119
	v_fma_f32 v119, 0xbf788fa5, v146, -v143
	v_add_f32_e32 v138, v138, v152
	v_add_f32_e32 v139, v139, v154
	;; [unrolled: 1-line block ×4, first 2 shown]
	v_mul_f32_e32 v87, 0xbf6f5d39, v166
	v_fmamk_f32 v137, v163, 0xbeb58ec6, v87
	v_fma_f32 v87, 0xbeb58ec6, v163, -v87
	v_add_f32_e32 v137, v137, v151
	v_add_f32_e32 v87, v87, v153
	;; [unrolled: 1-line block ×3, first 2 shown]
	v_mul_f32_e32 v141, 0xbf788fa5, v168
	v_add_f32_e32 v87, v140, v87
	v_fmamk_f32 v142, v169, 0x3e750f2a, v141
	v_fmac_f32_e32 v141, 0xbe750f2a, v169
	v_add_f32_e32 v138, v142, v138
	v_mul_f32_e32 v142, 0x3f29c268, v78
	v_add_f32_e32 v139, v141, v139
	v_fmamk_f32 v143, v70, 0xbf3f9e67, v142
	v_fma_f32 v140, 0xbf3f9e67, v70, -v142
	v_add_f32_e32 v137, v143, v137
	v_mul_f32_e32 v143, 0xbf3f9e67, v77
	v_add_f32_e32 v87, v140, v87
	v_fmamk_f32 v144, v71, 0xbf29c268, v143
	v_fmac_f32_e32 v143, 0x3f29c268, v71
	v_add_f32_e32 v138, v144, v138
	v_mul_f32_e32 v144, 0x3f7e222b, v159
	v_add_f32_e32 v139, v143, v139
	v_mul_f32_e32 v143, 0xbf788fa5, v164
	v_fmamk_f32 v147, v160, 0x3df6dbef, v144
	v_fma_f32 v140, 0x3df6dbef, v160, -v144
	v_mul_f32_e32 v144, 0x3f6f5d39, v170
	v_fmamk_f32 v142, v165, 0x3e750f2a, v143
	v_fmac_f32_e32 v143, 0xbe750f2a, v165
	v_add_f32_e32 v137, v147, v137
	v_mul_f32_e32 v147, 0x3df6dbef, v161
	v_add_f32_e32 v87, v140, v87
	v_add_f32_e32 v142, v142, v156
	;; [unrolled: 1-line block ×3, first 2 shown]
	v_mul_f32_e32 v156, 0x3f116cb1, v171
	v_fmamk_f32 v148, v162, 0xbf7e222b, v147
	v_fmac_f32_e32 v147, 0x3f7e222b, v162
	v_add_f32_e32 v138, v148, v138
	v_mul_f32_e32 v148, 0x3eedf032, v145
	v_add_f32_e32 v140, v147, v139
	v_fmamk_f32 v147, v167, 0xbeb58ec6, v144
	v_fma_f32 v144, 0xbeb58ec6, v167, -v144
	v_fma_f32 v139, 0x3f62ad3f, v146, -v148
	v_fmamk_f32 v149, v146, 0x3f62ad3f, v148
	v_add_f32_e32 v139, v139, v87
	v_mul_f32_e32 v87, 0xbe750f2a, v166
	v_add_f32_e32 v137, v149, v137
	v_mul_f32_e32 v149, 0x3f62ad3f, v171
	v_fmamk_f32 v141, v163, 0xbf788fa5, v87
	v_fma_f32 v87, 0xbf788fa5, v163, -v87
	v_fmamk_f32 v150, v172, 0xbeedf032, v149
	v_fmac_f32_e32 v149, 0x3eedf032, v172
	v_add_f32_e32 v141, v141, v155
	v_add_f32_e32 v87, v87, v157
	;; [unrolled: 1-line block ×4, first 2 shown]
	v_mul_f32_e32 v155, 0x3f52af12, v145
	v_add_f32_e32 v141, v147, v141
	v_mul_f32_e32 v147, 0xbeb58ec6, v168
	v_add_f32_e32 v87, v144, v87
	v_fmamk_f32 v148, v169, 0xbf6f5d39, v147
	v_fmac_f32_e32 v147, 0x3f6f5d39, v169
	v_add_f32_e32 v142, v148, v142
	v_mul_f32_e32 v148, 0x3eedf032, v78
	v_add_f32_e32 v143, v147, v143
	v_fmamk_f32 v149, v70, 0x3f62ad3f, v148
	v_fma_f32 v144, 0x3f62ad3f, v70, -v148
	v_add_f32_e32 v141, v149, v141
	v_mul_f32_e32 v149, 0x3f62ad3f, v77
	v_add_f32_e32 v87, v144, v87
	v_fmamk_f32 v150, v71, 0xbeedf032, v149
	v_fmac_f32_e32 v149, 0x3eedf032, v71
	v_add_f32_e32 v142, v150, v142
	v_mul_f32_e32 v150, 0xbf52af12, v159
	v_add_f32_e32 v143, v149, v143
	v_fmamk_f32 v151, v160, 0x3f116cb1, v150
	v_fma_f32 v144, 0x3f116cb1, v160, -v150
	v_add_f32_e32 v141, v151, v141
	v_mul_f32_e32 v151, 0x3f116cb1, v161
	v_add_f32_e32 v87, v144, v87
	v_fmamk_f32 v152, v162, 0x3f52af12, v151
	v_fmac_f32_e32 v151, 0xbf52af12, v162
	v_add_f32_e32 v142, v152, v142
	v_mul_f32_e32 v152, 0xbf29c268, v145
	v_add_f32_e32 v144, v151, v143
	v_fma_f32 v143, 0xbf3f9e67, v146, -v152
	v_fmamk_f32 v153, v146, 0xbf3f9e67, v152
	v_add_f32_e32 v143, v143, v87
	v_mul_f32_e32 v87, 0x3f29c268, v166
	v_add_f32_e32 v141, v153, v141
	v_mul_f32_e32 v153, 0xbf3f9e67, v171
	v_fmamk_f32 v147, v163, 0xbf3f9e67, v87
	v_fma_f32 v87, 0xbf3f9e67, v163, -v87
	v_fmamk_f32 v154, v172, 0x3f29c268, v153
	v_fmac_f32_e32 v153, 0xbf29c268, v172
	v_add_f32_e32 v86, v147, v86
	v_mul_f32_e32 v147, 0xbf3f9e67, v164
	v_add_f32_e32 v84, v87, v84
	v_add_f32_e32 v144, v153, v144
	;; [unrolled: 1-line block ×3, first 2 shown]
	v_fmamk_f32 v148, v165, 0xbf29c268, v147
	v_fmac_f32_e32 v147, 0x3f29c268, v165
	v_add_f32_e32 v85, v148, v85
	v_mul_f32_e32 v148, 0x3eedf032, v170
	v_add_f32_e32 v83, v147, v83
	v_fmamk_f32 v149, v167, 0x3f62ad3f, v148
	v_fma_f32 v87, 0x3f62ad3f, v167, -v148
	v_add_f32_e32 v86, v149, v86
	v_mul_f32_e32 v149, 0x3f62ad3f, v168
	v_add_f32_e32 v84, v87, v84
	v_fmamk_f32 v150, v169, 0xbeedf032, v149
	v_fmac_f32_e32 v149, 0x3eedf032, v169
	v_add_f32_e32 v85, v150, v85
	v_mul_f32_e32 v150, 0xbf7e222b, v78
	v_add_f32_e32 v83, v149, v83
	v_fmamk_f32 v151, v70, 0x3df6dbef, v150
	v_fma_f32 v87, 0x3df6dbef, v70, -v150
	v_add_f32_e32 v86, v151, v86
	v_mul_f32_e32 v151, 0x3df6dbef, v77
	v_add_f32_e32 v84, v87, v84
	;; [unrolled: 10-line block ×3, first 2 shown]
	v_fmamk_f32 v154, v162, 0xbe750f2a, v153
	v_fmac_f32_e32 v153, 0x3e750f2a, v162
	v_add_f32_e32 v154, v154, v85
	v_fmamk_f32 v85, v146, 0x3f116cb1, v155
	v_add_f32_e32 v87, v153, v83
	v_fma_f32 v83, 0x3f116cb1, v146, -v155
	v_mul_f32_e32 v155, 0xbf6f5d39, v145
	v_mul_f32_e32 v145, 0x3f7e222b, v145
	v_add_f32_e32 v85, v85, v86
	v_fmamk_f32 v86, v172, 0xbf52af12, v156
	v_fmac_f32_e32 v156, 0x3f52af12, v172
	v_add_f32_e32 v83, v83, v84
	v_add_f32_e32 v86, v86, v154
	;; [unrolled: 1-line block ×3, first 2 shown]
	v_mul_f32_e32 v87, 0x3f7e222b, v166
	v_mul_f32_e32 v156, 0xbeb58ec6, v171
	v_fmamk_f32 v147, v163, 0x3df6dbef, v87
	v_fma_f32 v87, 0x3df6dbef, v163, -v87
	v_add_f32_e32 v82, v147, v82
	v_mul_f32_e32 v147, 0x3df6dbef, v164
	v_add_f32_e32 v80, v87, v80
	v_fmamk_f32 v148, v165, 0xbf7e222b, v147
	v_fmac_f32_e32 v147, 0x3f7e222b, v165
	v_add_f32_e32 v81, v148, v81
	v_mul_f32_e32 v148, 0xbf52af12, v170
	v_add_f32_e32 v79, v147, v79
	v_fmamk_f32 v149, v167, 0x3f116cb1, v148
	v_fma_f32 v87, 0x3f116cb1, v167, -v148
	v_add_f32_e32 v82, v149, v82
	v_mul_f32_e32 v149, 0x3f116cb1, v168
	v_add_f32_e32 v80, v87, v80
	v_fmamk_f32 v150, v169, 0x3f52af12, v149
	v_fmac_f32_e32 v149, 0xbf52af12, v169
	v_add_f32_e32 v81, v150, v81
	v_mul_f32_e32 v150, 0x3e750f2a, v78
	v_add_f32_e32 v79, v149, v79
	v_mul_f32_e32 v78, 0x3f52af12, v78
	v_fmamk_f32 v151, v70, 0xbf788fa5, v150
	v_fma_f32 v87, 0xbf788fa5, v70, -v150
	v_add_f32_e32 v82, v151, v82
	v_mul_f32_e32 v151, 0xbf788fa5, v77
	v_add_f32_e32 v80, v87, v80
	v_mul_f32_e32 v77, 0x3f116cb1, v77
	v_fmamk_f32 v152, v71, 0xbe750f2a, v151
	v_fmac_f32_e32 v151, 0x3e750f2a, v71
	v_add_f32_e32 v81, v152, v81
	v_mul_f32_e32 v152, 0x3eedf032, v159
	v_add_f32_e32 v79, v151, v79
	v_fmamk_f32 v153, v160, 0x3f62ad3f, v152
	v_fma_f32 v87, 0x3f62ad3f, v160, -v152
	v_add_f32_e32 v82, v153, v82
	v_mul_f32_e32 v153, 0x3f62ad3f, v161
	v_add_f32_e32 v80, v87, v80
	v_fmamk_f32 v154, v162, 0xbeedf032, v153
	v_fmac_f32_e32 v153, 0x3eedf032, v162
	v_add_f32_e32 v154, v154, v81
	v_fmamk_f32 v81, v146, 0xbeb58ec6, v155
	v_add_f32_e32 v87, v153, v79
	v_fma_f32 v79, 0xbeb58ec6, v146, -v155
	v_mul_f32_e32 v153, 0x3df6dbef, v171
	v_add_f32_e32 v81, v81, v82
	v_fmamk_f32 v82, v172, 0x3f6f5d39, v156
	v_fmac_f32_e32 v156, 0xbf6f5d39, v172
	v_add_f32_e32 v79, v79, v80
	v_add_f32_e32 v82, v82, v154
	;; [unrolled: 1-line block ×3, first 2 shown]
	v_mul_f32_e32 v87, 0x3eedf032, v166
	v_fmamk_f32 v147, v163, 0x3f62ad3f, v87
	v_fma_f32 v87, 0x3f62ad3f, v163, -v87
	v_add_f32_e32 v73, v147, v73
	v_mul_f32_e32 v147, 0x3f62ad3f, v164
	v_add_f32_e32 v68, v87, v68
	v_fmamk_f32 v148, v165, 0xbeedf032, v147
	v_fmac_f32_e32 v147, 0x3eedf032, v165
	v_add_f32_e32 v72, v148, v72
	v_mul_f32_e32 v148, 0xbf29c268, v170
	v_add_f32_e32 v69, v147, v69
	v_fmamk_f32 v149, v167, 0xbf3f9e67, v148
	v_fma_f32 v148, 0xbf3f9e67, v167, -v148
	v_add_f32_e32 v73, v149, v73
	v_mul_f32_e32 v149, 0xbf3f9e67, v168
	v_add_f32_e32 v68, v148, v68
	v_fmamk_f32 v150, v169, 0x3f29c268, v149
	v_fmac_f32_e32 v149, 0xbf29c268, v169
	v_add_f32_e32 v72, v150, v72
	v_fmamk_f32 v150, v70, 0x3f116cb1, v78
	v_add_f32_e32 v69, v149, v69
	v_fma_f32 v70, 0x3f116cb1, v70, -v78
	v_add_f32_e32 v73, v150, v73
	v_fmamk_f32 v150, v71, 0xbf52af12, v77
	v_fmac_f32_e32 v77, 0x3f52af12, v71
	v_add_f32_e32 v68, v70, v68
	v_add_f32_e32 v72, v150, v72
	v_mul_f32_e32 v150, 0xbf6f5d39, v159
	v_add_f32_e32 v69, v77, v69
	v_fmamk_f32 v151, v160, 0xbeb58ec6, v150
	v_fma_f32 v70, 0xbeb58ec6, v160, -v150
	v_add_f32_e32 v73, v151, v73
	v_mul_f32_e32 v151, 0xbeb58ec6, v161
	v_add_f32_e32 v68, v70, v68
	v_fma_f32 v70, 0x3df6dbef, v146, -v145
	v_fmamk_f32 v152, v162, 0x3f6f5d39, v151
	v_fmac_f32_e32 v151, 0xbf6f5d39, v162
	v_add_f32_e32 v68, v70, v68
	v_add_f32_e32 v152, v152, v72
	v_fmamk_f32 v72, v146, 0x3df6dbef, v145
	v_add_f32_e32 v69, v151, v69
	v_add_f32_e32 v72, v72, v73
	v_fmamk_f32 v73, v172, 0xbf7e222b, v153
	v_fmac_f32_e32 v153, 0x3f7e222b, v172
	v_add_f32_e32 v73, v73, v152
	v_add_f32_e32 v69, v153, v69
	ds_write2_b64 v74, v[64:65], v[135:136] offset1:1
	ds_write2_b64 v74, v[137:138], v[141:142] offset0:2 offset1:3
	ds_write2_b64 v74, v[85:86], v[81:82] offset0:4 offset1:5
	;; [unrolled: 1-line block ×5, first 2 shown]
	ds_write_b64 v74, v[119:120] offset:96
	s_waitcnt lgkmcnt(0)
	s_barrier
	buffer_gl0_inv
	ds_read2_b64 v[68:71], v121 offset1:117
	ds_read2_b64 v[84:87], v67 offset0:123 offset1:240
	ds_read2_b64 v[80:83], v76 offset0:118 offset1:235
	;; [unrolled: 1-line block ×5, first 2 shown]
	s_and_saveexec_b32 s0, vcc_lo
	s_cbranch_execz .LBB0_11
; %bb.10:
	ds_read_b64 v[119:120], v121 offset:3744
	ds_read_b64 v[117:118], v121 offset:7800
	ds_read_b64 v[115:116], v121 offset:11856
.LBB0_11:
	s_or_b32 exec_lo, exec_lo, s0
	s_waitcnt lgkmcnt(4)
	v_mul_f32_e32 v134, v21, v85
	v_mul_f32_e32 v21, v21, v84
	s_waitcnt lgkmcnt(3)
	v_mul_f32_e32 v135, v23, v81
	v_mul_f32_e32 v23, v23, v80
	s_waitcnt lgkmcnt(0)
	v_fmac_f32_e32 v134, v20, v84
	v_fma_f32 v20, v20, v85, -v21
	v_mul_f32_e32 v21, v17, v87
	v_fmac_f32_e32 v135, v22, v80
	v_mul_f32_e32 v17, v17, v86
	v_fma_f32 v22, v22, v81, -v23
	v_mul_f32_e32 v23, v19, v83
	v_mul_f32_e32 v19, v19, v82
	v_fmac_f32_e32 v21, v16, v86
	v_fma_f32 v16, v16, v87, -v17
	v_mul_f32_e32 v17, v9, v77
	v_fmac_f32_e32 v23, v18, v82
	v_mul_f32_e32 v9, v9, v76
	v_fma_f32 v18, v18, v83, -v19
	v_mul_f32_e32 v19, v11, v73
	v_mul_f32_e32 v11, v11, v72
	;; [unrolled: 8-line block ×4, first 2 shown]
	v_fmac_f32_e32 v79, v0, v117
	v_fma_f32 v80, v0, v118, -v1
	v_add_f32_e32 v0, v134, v135
	v_add_f32_e32 v1, v68, v134
	v_fma_f32 v81, v2, v116, -v3
	v_add_f32_e32 v3, v20, v22
	v_fmac_f32_e32 v75, v2, v115
	v_fma_f32 v0, -0.5, v0, v68
	v_sub_f32_e32 v5, v20, v22
	v_add_f32_e32 v2, v1, v135
	v_add_f32_e32 v6, v69, v20
	v_fma_f32 v1, -0.5, v3, v69
	v_sub_f32_e32 v7, v134, v135
	v_fmamk_f32 v4, v5, 0xbf5db3d7, v0
	v_fmac_f32_e32 v0, 0x3f5db3d7, v5
	v_add_f32_e32 v3, v6, v22
	v_add_f32_e32 v6, v21, v23
	v_fmamk_f32 v5, v7, 0x3f5db3d7, v1
	v_fmac_f32_e32 v1, 0xbf5db3d7, v7
	v_add_f32_e32 v7, v16, v18
	v_add_f32_e32 v8, v70, v21
	v_fma_f32 v70, -0.5, v6, v70
	v_sub_f32_e32 v9, v16, v18
	v_add_f32_e32 v10, v71, v16
	v_fmac_f32_e32 v71, -0.5, v7
	v_sub_f32_e32 v11, v21, v23
	v_add_f32_e32 v6, v8, v23
	v_fmamk_f32 v8, v9, 0xbf5db3d7, v70
	v_fmac_f32_e32 v70, 0x3f5db3d7, v9
	v_add_f32_e32 v7, v10, v18
	v_add_f32_e32 v10, v17, v19
	v_fmamk_f32 v9, v11, 0x3f5db3d7, v71
	v_fmac_f32_e32 v71, 0xbf5db3d7, v11
	v_add_f32_e32 v11, v76, v72
	v_add_f32_e32 v16, v64, v17
	v_fma_f32 v10, -0.5, v10, v64
	v_sub_f32_e32 v20, v76, v72
	v_add_f32_e32 v21, v65, v76
	v_fma_f32 v11, -0.5, v11, v65
	v_sub_f32_e32 v22, v17, v19
	v_add_f32_e32 v16, v16, v19
	v_fmamk_f32 v18, v20, 0xbf5db3d7, v10
	v_fmac_f32_e32 v10, 0x3f5db3d7, v20
	v_add_f32_e32 v17, v21, v72
	v_add_f32_e32 v20, v77, v73
	v_fmamk_f32 v19, v22, 0x3f5db3d7, v11
	v_add_f32_e32 v21, v66, v77
	v_fmac_f32_e32 v11, 0xbf5db3d7, v22
	v_add_f32_e32 v22, v78, v74
	v_fma_f32 v66, -0.5, v20, v66
	v_sub_f32_e32 v23, v78, v74
	v_add_f32_e32 v20, v21, v73
	v_add_f32_e32 v21, v67, v78
	v_fmac_f32_e32 v67, -0.5, v22
	v_sub_f32_e32 v64, v77, v73
	v_fmamk_f32 v22, v23, 0xbf5db3d7, v66
	v_fmac_f32_e32 v66, 0x3f5db3d7, v23
	v_add_f32_e32 v65, v79, v75
	v_add_f32_e32 v68, v119, v79
	v_fmamk_f32 v23, v64, 0x3f5db3d7, v67
	v_fmac_f32_e32 v67, 0xbf5db3d7, v64
	v_add_f32_e32 v64, v80, v81
	v_fmac_f32_e32 v119, -0.5, v65
	v_sub_f32_e32 v65, v80, v81
	v_add_f32_e32 v69, v120, v80
	v_add_f32_e32 v68, v68, v75
	v_fmac_f32_e32 v120, -0.5, v64
	v_sub_f32_e32 v64, v79, v75
	v_fmamk_f32 v72, v65, 0xbf5db3d7, v119
	v_fmac_f32_e32 v119, 0x3f5db3d7, v65
	v_add_f32_e32 v69, v69, v81
	v_add_f32_e32 v21, v21, v74
	v_fmamk_f32 v73, v64, 0x3f5db3d7, v120
	v_fmac_f32_e32 v120, 0xbf5db3d7, v64
	s_barrier
	buffer_gl0_inv
	ds_write2_b64 v128, v[2:3], v[4:5] offset1:13
	ds_write_b64 v128, v[0:1] offset:208
	ds_write2_b64 v127, v[6:7], v[8:9] offset1:13
	ds_write_b64 v127, v[70:71] offset:208
	ds_write2_b64 v126, v[16:17], v[18:19] offset1:13
	ds_write_b64 v126, v[10:11] offset:208
	ds_write2_b64 v125, v[20:21], v[22:23] offset1:13
	ds_write_b64 v125, v[66:67] offset:208
	s_and_saveexec_b32 s0, vcc_lo
	s_cbranch_execz .LBB0_13
; %bb.12:
	v_mad_u16 v0, v123, 39, v124
	v_mov_b32_e32 v1, 3
	v_lshlrev_b32_sdwa v0, v1, v0 dst_sel:DWORD dst_unused:UNUSED_PAD src0_sel:DWORD src1_sel:WORD_0
	ds_write2_b64 v0, v[68:69], v[72:73] offset1:13
	ds_write_b64 v0, v[119:120] offset:208
.LBB0_13:
	s_or_b32 exec_lo, exec_lo, s0
	v_add_nc_u32_e32 v4, 0xc00, v121
	v_add_nc_u32_e32 v5, 0x1c00, v121
	;; [unrolled: 1-line block ×5, first 2 shown]
	s_waitcnt lgkmcnt(0)
	s_barrier
	buffer_gl0_inv
	ds_read2_b64 v[0:3], v121 offset1:117
	ds_read2_b64 v[64:67], v4 offset0:123 offset1:240
	ds_read2_b64 v[20:23], v5 offset0:118 offset1:235
	;; [unrolled: 1-line block ×5, first 2 shown]
	s_and_saveexec_b32 s0, vcc_lo
	s_cbranch_execz .LBB0_15
; %bb.14:
	ds_read_b64 v[68:69], v121 offset:3744
	ds_read_b64 v[72:73], v121 offset:7800
	;; [unrolled: 1-line block ×3, first 2 shown]
.LBB0_15:
	s_or_b32 exec_lo, exec_lo, s0
	s_waitcnt lgkmcnt(4)
	v_mul_f32_e32 v70, v53, v65
	v_mul_f32_e32 v53, v53, v64
	s_waitcnt lgkmcnt(3)
	v_mul_f32_e32 v71, v55, v21
	v_mul_f32_e32 v55, v55, v20
	s_waitcnt lgkmcnt(0)
	v_fmac_f32_e32 v70, v52, v64
	v_fma_f32 v52, v52, v65, -v53
	v_mul_f32_e32 v53, v49, v67
	v_fmac_f32_e32 v71, v54, v20
	v_mul_f32_e32 v20, v49, v66
	v_mul_f32_e32 v49, v51, v23
	v_mul_f32_e32 v51, v51, v22
	v_fmac_f32_e32 v53, v48, v66
	v_fma_f32 v21, v54, v21, -v55
	v_fma_f32 v20, v48, v67, -v20
	v_mul_f32_e32 v48, v37, v17
	v_fmac_f32_e32 v49, v50, v22
	v_mul_f32_e32 v22, v37, v16
	v_mul_f32_e32 v37, v39, v9
	v_fma_f32 v23, v50, v23, -v51
	v_fmac_f32_e32 v48, v36, v16
	v_mul_f32_e32 v16, v39, v8
	v_fma_f32 v22, v36, v17, -v22
	v_mul_f32_e32 v36, v29, v19
	v_fmac_f32_e32 v37, v38, v8
	v_mul_f32_e32 v8, v29, v18
	v_fma_f32 v29, v38, v9, -v16
	v_mul_f32_e32 v9, v31, v10
	v_mul_f32_e32 v38, v31, v11
	v_fmac_f32_e32 v36, v28, v18
	v_fma_f32 v28, v28, v19, -v8
	v_add_f32_e32 v8, v70, v71
	v_fma_f32 v31, v30, v11, -v9
	v_add_f32_e32 v9, v52, v21
	v_fmac_f32_e32 v38, v30, v10
	v_add_f32_e32 v10, v0, v70
	v_fma_f32 v0, -0.5, v8, v0
	v_sub_f32_e32 v11, v52, v21
	v_add_f32_e32 v16, v1, v52
	v_fma_f32 v1, -0.5, v9, v1
	v_sub_f32_e32 v17, v70, v71
	v_add_f32_e32 v8, v10, v71
	v_fmamk_f32 v10, v11, 0xbf5db3d7, v0
	v_fmac_f32_e32 v0, 0x3f5db3d7, v11
	v_add_f32_e32 v9, v16, v21
	v_add_f32_e32 v16, v53, v49
	v_fmamk_f32 v11, v17, 0x3f5db3d7, v1
	v_fmac_f32_e32 v1, 0xbf5db3d7, v17
	v_add_f32_e32 v17, v20, v23
	v_sub_f32_e32 v19, v20, v23
	v_add_f32_e32 v20, v3, v20
	v_add_f32_e32 v18, v2, v53
	v_fma_f32 v2, -0.5, v16, v2
	v_fmac_f32_e32 v3, -0.5, v17
	v_sub_f32_e32 v21, v53, v49
	v_add_f32_e32 v17, v20, v23
	v_add_f32_e32 v20, v48, v37
	;; [unrolled: 1-line block ×4, first 2 shown]
	v_fmamk_f32 v18, v19, 0xbf5db3d7, v2
	v_fmac_f32_e32 v2, 0x3f5db3d7, v19
	v_fmamk_f32 v19, v21, 0x3f5db3d7, v3
	v_fmac_f32_e32 v3, 0xbf5db3d7, v21
	v_add_f32_e32 v21, v22, v29
	v_fma_f32 v4, -0.5, v20, v4
	v_sub_f32_e32 v30, v22, v29
	v_add_f32_e32 v20, v23, v37
	v_add_f32_e32 v23, v5, v22
	v_fma_f32 v5, -0.5, v21, v5
	v_sub_f32_e32 v37, v48, v37
	v_fmamk_f32 v22, v30, 0xbf5db3d7, v4
	v_fmac_f32_e32 v4, 0x3f5db3d7, v30
	v_add_f32_e32 v21, v23, v29
	v_add_f32_e32 v29, v36, v38
	;; [unrolled: 1-line block ×3, first 2 shown]
	v_fmamk_f32 v23, v37, 0x3f5db3d7, v5
	v_fmac_f32_e32 v5, 0xbf5db3d7, v37
	v_add_f32_e32 v37, v6, v36
	v_fma_f32 v6, -0.5, v29, v6
	v_sub_f32_e32 v29, v28, v31
	v_add_f32_e32 v39, v7, v28
	v_fmac_f32_e32 v7, -0.5, v30
	v_sub_f32_e32 v36, v36, v38
	v_add_f32_e32 v28, v37, v38
	v_fmamk_f32 v30, v29, 0xbf5db3d7, v6
	v_fmac_f32_e32 v6, 0x3f5db3d7, v29
	v_add_f32_e32 v29, v39, v31
	v_fmamk_f32 v31, v36, 0x3f5db3d7, v7
	v_fmac_f32_e32 v7, 0xbf5db3d7, v36
	s_barrier
	buffer_gl0_inv
	ds_write2_b64 v133, v[8:9], v[10:11] offset1:39
	ds_write_b64 v133, v[0:1] offset:624
	ds_write2_b64 v132, v[16:17], v[18:19] offset1:39
	ds_write_b64 v132, v[2:3] offset:624
	;; [unrolled: 2-line block ×4, first 2 shown]
	s_and_saveexec_b32 s0, vcc_lo
	s_cbranch_execz .LBB0_17
; %bb.16:
	v_mul_f32_e32 v0, v13, v72
	v_mul_f32_e32 v1, v15, v119
	v_mul_f32_e32 v2, v13, v73
	v_mul_f32_e32 v6, v15, v120
	v_fma_f32 v0, v12, v73, -v0
	v_fma_f32 v3, v14, v120, -v1
	v_fmac_f32_e32 v2, v12, v72
	v_fmac_f32_e32 v6, v14, v119
	v_mov_b32_e32 v1, 3
	v_add_f32_e32 v9, v69, v0
	v_add_f32_e32 v4, v0, v3
	v_sub_f32_e32 v10, v0, v3
	v_add_f32_e32 v5, v2, v6
	v_lshlrev_b32_sdwa v7, v1, v129 dst_sel:DWORD dst_unused:UNUSED_PAD src0_sel:DWORD src1_sel:WORD_0
	v_sub_f32_e32 v8, v2, v6
	v_fma_f32 v1, -0.5, v4, v69
	v_add_f32_e32 v2, v68, v2
	v_fma_f32 v0, -0.5, v5, v68
	v_add_f32_e32 v3, v9, v3
	v_fmamk_f32 v5, v8, 0xbf5db3d7, v1
	v_fmac_f32_e32 v1, 0x3f5db3d7, v8
	v_fmamk_f32 v4, v10, 0x3f5db3d7, v0
	v_add_f32_e32 v2, v2, v6
	v_add_nc_u32_e32 v6, 0x2800, v7
	v_fmac_f32_e32 v0, 0xbf5db3d7, v10
	ds_write2_b64 v6, v[2:3], v[0:1] offset0:124 offset1:163
	ds_write_b64 v7, v[4:5] offset:11856
.LBB0_17:
	s_or_b32 exec_lo, exec_lo, s0
	s_waitcnt lgkmcnt(0)
	s_barrier
	buffer_gl0_inv
	ds_read2_b64 v[13:16], v121 offset1:117
	v_add_nc_u32_e32 v6, 0x400, v121
	v_add_nc_u32_e32 v5, 0xc00, v121
	ds_read2_b64 v[7:10], v6 offset0:106 offset1:223
	ds_read2_b64 v[17:20], v5 offset0:84 offset1:201
	v_add_nc_u32_e32 v4, 0x1400, v121
	v_add_nc_u32_e32 v3, 0x1c00, v121
	;; [unrolled: 1-line block ×3, first 2 shown]
	ds_read_b64 v[0:1], v121 offset:11232
	ds_read2_b64 v[28:31], v4 offset0:62 offset1:179
	ds_read2_b64 v[36:39], v3 offset0:40 offset1:157
	;; [unrolled: 1-line block ×3, first 2 shown]
	s_mov_b32 s0, 0x509ee28c
	s_mov_b32 s1, 0x3f458b31
	s_mul_i32 s2, s9, 0x3a8
	s_mul_hi_u32 s3, s8, 0x3a8
	s_add_i32 s2, s3, s2
	s_mul_i32 s3, s8, 0x3a8
	s_waitcnt lgkmcnt(6)
	v_mul_f32_e32 v21, v61, v16
	v_mul_f32_e32 v11, v61, v15
	v_fmac_f32_e32 v21, v60, v15
	v_fma_f32 v15, v60, v16, -v11
	s_waitcnt lgkmcnt(5)
	v_mul_f32_e32 v16, v63, v8
	v_mul_f32_e32 v12, v63, v7
	;; [unrolled: 1-line block ×3, first 2 shown]
	s_waitcnt lgkmcnt(4)
	v_mul_f32_e32 v52, v59, v18
	v_mul_f32_e32 v53, v59, v17
	;; [unrolled: 1-line block ×3, first 2 shown]
	v_fmac_f32_e32 v16, v62, v7
	v_fma_f32 v54, v62, v8, -v12
	v_fma_f32 v23, v56, v10, -v23
	v_fmac_f32_e32 v52, v58, v17
	v_fma_f32 v17, v58, v18, -v53
	v_add_f32_e32 v10, v13, v21
	v_add_f32_e32 v18, v14, v15
	v_mul_f32_e32 v11, v41, v20
	v_fmac_f32_e32 v22, v56, v9
	v_mul_f32_e32 v41, v41, v19
	v_add_f32_e32 v10, v10, v16
	v_add_f32_e32 v18, v18, v54
	v_fmac_f32_e32 v11, v40, v19
	s_waitcnt lgkmcnt(2)
	v_mul_f32_e32 v8, v25, v31
	v_mul_f32_e32 v19, v25, v30
	v_add_f32_e32 v25, v10, v22
	v_add_f32_e32 v18, v18, v23
	v_mul_f32_e32 v7, v43, v29
	v_fma_f32 v12, v40, v20, -v41
	v_mul_f32_e32 v9, v43, v28
	v_fmac_f32_e32 v8, v24, v30
	v_fma_f32 v10, v24, v31, -v19
	v_add_f32_e32 v24, v25, v52
	v_add_f32_e32 v18, v18, v17
	v_fmac_f32_e32 v7, v42, v28
	v_fma_f32 v9, v42, v29, -v9
	s_waitcnt lgkmcnt(1)
	v_mul_f32_e32 v20, v27, v37
	v_add_f32_e32 v24, v24, v11
	v_add_f32_e32 v18, v18, v12
	v_mul_f32_e32 v19, v27, v36
	v_mul_f32_e32 v25, v45, v39
	v_fmac_f32_e32 v20, v26, v36
	v_add_f32_e32 v24, v24, v7
	v_add_f32_e32 v18, v18, v9
	v_fma_f32 v19, v26, v37, -v19
	v_mul_f32_e32 v26, v45, v38
	v_mul_f32_e32 v30, v35, v0
	v_add_f32_e32 v24, v24, v8
	v_add_f32_e32 v18, v18, v10
	v_fmac_f32_e32 v25, v44, v38
	s_waitcnt lgkmcnt(0)
	v_mul_f32_e32 v27, v47, v49
	v_fma_f32 v26, v44, v39, -v26
	v_mul_f32_e32 v28, v47, v48
	v_add_f32_e32 v24, v24, v20
	v_add_f32_e32 v18, v18, v19
	v_mul_f32_e32 v31, v35, v1
	v_fma_f32 v1, v34, v1, -v30
	v_fmac_f32_e32 v27, v46, v48
	v_mul_f32_e32 v29, v33, v51
	v_fma_f32 v28, v46, v49, -v28
	v_mul_f32_e32 v30, v33, v50
	v_add_f32_e32 v24, v24, v25
	v_add_f32_e32 v18, v18, v26
	v_fmac_f32_e32 v31, v34, v0
	v_sub_f32_e32 v33, v15, v1
	v_fmac_f32_e32 v29, v32, v50
	v_fma_f32 v30, v32, v51, -v30
	v_add_f32_e32 v0, v24, v27
	v_add_f32_e32 v18, v18, v28
	;; [unrolled: 1-line block ×3, first 2 shown]
	v_mul_f32_e32 v32, 0xbeedf032, v33
	v_add_f32_e32 v15, v15, v1
	v_sub_f32_e32 v53, v54, v30
	v_add_f32_e32 v18, v18, v30
	v_add_f32_e32 v0, v0, v29
	v_fmamk_f32 v34, v24, 0x3f62ad3f, v32
	v_sub_f32_e32 v21, v21, v31
	v_mul_f32_e32 v35, 0x3f62ad3f, v15
	v_add_f32_e32 v1, v18, v1
	v_mul_f32_e32 v36, 0x3f116cb1, v15
	v_add_f32_e32 v18, v13, v34
	v_mul_f32_e32 v34, 0xbf52af12, v33
	v_mul_f32_e32 v39, 0xbf7e222b, v33
	;; [unrolled: 1-line block ×9, first 2 shown]
	v_add_f32_e32 v56, v16, v29
	v_mul_f32_e32 v57, 0xbf52af12, v53
	v_add_f32_e32 v30, v54, v30
	v_add_f32_e32 v0, v0, v31
	v_fmamk_f32 v31, v21, 0x3eedf032, v35
	v_fma_f32 v32, 0x3f62ad3f, v24, -v32
	v_fmac_f32_e32 v35, 0xbeedf032, v21
	v_fmamk_f32 v37, v24, 0x3f116cb1, v34
	v_fmamk_f32 v38, v21, 0x3f52af12, v36
	v_fma_f32 v34, 0x3f116cb1, v24, -v34
	v_fmac_f32_e32 v36, 0xbf52af12, v21
	v_fmamk_f32 v40, v24, 0x3df6dbef, v39
	;; [unrolled: 4-line block ×5, first 2 shown]
	v_fmamk_f32 v55, v21, 0x3e750f2a, v15
	v_fma_f32 v24, 0xbf788fa5, v24, -v33
	v_fmac_f32_e32 v15, 0xbe750f2a, v21
	v_sub_f32_e32 v16, v16, v29
	v_fmamk_f32 v21, v56, 0x3f116cb1, v57
	v_mul_f32_e32 v29, 0x3f116cb1, v30
	v_add_f32_e32 v31, v14, v31
	v_add_f32_e32 v32, v13, v32
	;; [unrolled: 1-line block ×24, first 2 shown]
	v_fmamk_f32 v18, v16, 0x3f52af12, v29
	v_mul_f32_e32 v21, 0xbf6f5d39, v53
	v_fma_f32 v24, 0x3f116cb1, v56, -v57
	v_fmac_f32_e32 v29, 0xbf52af12, v16
	v_mul_f32_e32 v54, 0xbeb58ec6, v30
	v_add_f32_e32 v18, v18, v31
	v_fmamk_f32 v31, v56, 0xbeb58ec6, v21
	v_add_f32_e32 v24, v24, v32
	v_add_f32_e32 v29, v29, v35
	v_fmamk_f32 v32, v16, 0x3f6f5d39, v54
	v_mul_f32_e32 v35, 0xbe750f2a, v53
	v_add_f32_e32 v31, v31, v37
	v_fma_f32 v21, 0xbeb58ec6, v56, -v21
	v_fmac_f32_e32 v54, 0xbf6f5d39, v16
	v_add_f32_e32 v32, v32, v38
	v_fmamk_f32 v37, v56, 0xbf788fa5, v35
	v_mul_f32_e32 v38, 0xbf788fa5, v30
	v_add_f32_e32 v21, v21, v34
	v_add_f32_e32 v34, v54, v36
	v_mul_f32_e32 v36, 0x3f29c268, v53
	v_add_f32_e32 v37, v37, v40
	v_fmamk_f32 v40, v16, 0x3e750f2a, v38
	v_fmac_f32_e32 v38, 0xbe750f2a, v16
	v_mul_f32_e32 v55, 0xbf3f9e67, v30
	v_fma_f32 v35, 0xbf788fa5, v56, -v35
	v_fmamk_f32 v54, v56, 0xbf3f9e67, v36
	v_add_f32_e32 v40, v40, v43
	v_add_f32_e32 v38, v38, v41
	v_fmamk_f32 v41, v16, 0xbf29c268, v55
	v_mul_f32_e32 v43, 0x3f7e222b, v53
	v_add_f32_e32 v35, v35, v39
	v_add_f32_e32 v39, v54, v44
	v_fma_f32 v36, 0xbf3f9e67, v56, -v36
	v_mul_f32_e32 v44, 0x3df6dbef, v30
	v_add_f32_e32 v41, v41, v46
	v_fmamk_f32 v46, v56, 0x3df6dbef, v43
	v_mul_f32_e32 v53, 0x3eedf032, v53
	v_fma_f32 v43, 0x3df6dbef, v56, -v43
	v_add_f32_e32 v36, v36, v42
	v_fmamk_f32 v42, v16, 0xbf7e222b, v44
	v_add_f32_e32 v46, v46, v49
	v_fmac_f32_e32 v44, 0x3f7e222b, v16
	v_fmamk_f32 v49, v56, 0x3f62ad3f, v53
	v_add_f32_e32 v43, v43, v47
	v_sub_f32_e32 v47, v23, v28
	v_add_f32_e32 v42, v42, v50
	v_mul_f32_e32 v30, 0x3f62ad3f, v30
	v_add_f32_e32 v44, v44, v48
	v_add_f32_e32 v48, v49, v51
	;; [unrolled: 1-line block ×3, first 2 shown]
	v_mul_f32_e32 v51, 0xbf7e222b, v47
	v_add_f32_e32 v23, v23, v28
	v_fmac_f32_e32 v55, 0x3f29c268, v16
	v_fmamk_f32 v49, v16, 0xbeedf032, v30
	v_fma_f32 v28, 0x3f62ad3f, v56, -v53
	v_fmac_f32_e32 v30, 0x3eedf032, v16
	v_sub_f32_e32 v16, v22, v27
	v_fmamk_f32 v22, v50, 0x3df6dbef, v51
	v_mul_f32_e32 v27, 0x3df6dbef, v23
	v_add_f32_e32 v33, v49, v33
	v_add_f32_e32 v13, v28, v13
	;; [unrolled: 1-line block ×4, first 2 shown]
	v_fmamk_f32 v22, v16, 0x3f7e222b, v27
	v_mul_f32_e32 v28, 0xbe750f2a, v47
	v_fma_f32 v30, 0x3df6dbef, v50, -v51
	v_fmac_f32_e32 v27, 0xbf7e222b, v16
	v_mul_f32_e32 v49, 0xbf788fa5, v23
	v_add_f32_e32 v18, v22, v18
	v_fmamk_f32 v22, v50, 0xbf788fa5, v28
	v_add_f32_e32 v24, v30, v24
	v_add_f32_e32 v27, v27, v29
	v_fmamk_f32 v29, v16, 0x3e750f2a, v49
	v_mul_f32_e32 v30, 0x3f6f5d39, v47
	v_fma_f32 v28, 0xbf788fa5, v50, -v28
	v_fmac_f32_e32 v49, 0xbe750f2a, v16
	v_add_f32_e32 v22, v22, v31
	v_add_f32_e32 v29, v29, v32
	v_fmamk_f32 v31, v50, 0xbeb58ec6, v30
	v_mul_f32_e32 v32, 0xbeb58ec6, v23
	v_add_f32_e32 v21, v28, v21
	v_add_f32_e32 v28, v49, v34
	v_mul_f32_e32 v34, 0x3eedf032, v47
	v_add_f32_e32 v31, v31, v37
	v_fmamk_f32 v37, v16, 0xbf6f5d39, v32
	v_fma_f32 v30, 0xbeb58ec6, v50, -v30
	v_fmac_f32_e32 v32, 0x3f6f5d39, v16
	v_fmamk_f32 v49, v50, 0x3f62ad3f, v34
	v_mul_f32_e32 v51, 0x3f62ad3f, v23
	v_add_f32_e32 v37, v37, v40
	v_add_f32_e32 v30, v30, v35
	;; [unrolled: 1-line block ×4, first 2 shown]
	v_fmamk_f32 v38, v16, 0xbeedf032, v51
	v_mul_f32_e32 v39, 0xbf52af12, v47
	v_fma_f32 v34, 0x3f62ad3f, v50, -v34
	v_mul_f32_e32 v40, 0x3f116cb1, v23
	v_mul_f32_e32 v47, 0xbf29c268, v47
	v_add_f32_e32 v38, v38, v41
	v_fmamk_f32 v41, v50, 0x3f116cb1, v39
	v_add_f32_e32 v34, v34, v36
	v_fmamk_f32 v36, v16, 0x3f52af12, v40
	v_fma_f32 v39, 0x3f116cb1, v50, -v39
	v_fmac_f32_e32 v40, 0xbf52af12, v16
	v_add_f32_e32 v41, v41, v46
	v_mul_f32_e32 v23, 0xbf3f9e67, v23
	v_add_f32_e32 v36, v36, v42
	v_fmamk_f32 v42, v50, 0xbf3f9e67, v47
	v_add_f32_e32 v39, v39, v43
	v_sub_f32_e32 v43, v17, v26
	v_add_f32_e32 v46, v52, v25
	v_add_f32_e32 v17, v17, v26
	;; [unrolled: 1-line block ×3, first 2 shown]
	v_fmac_f32_e32 v51, 0x3eedf032, v16
	v_mul_f32_e32 v48, 0xbf6f5d39, v43
	v_add_f32_e32 v40, v40, v44
	v_fmamk_f32 v44, v16, 0x3f29c268, v23
	v_fma_f32 v26, 0xbf3f9e67, v50, -v47
	v_fmac_f32_e32 v23, 0xbf29c268, v16
	v_sub_f32_e32 v16, v52, v25
	v_fmamk_f32 v25, v46, 0xbeb58ec6, v48
	v_mul_f32_e32 v47, 0xbeb58ec6, v17
	v_add_f32_e32 v33, v44, v33
	v_add_f32_e32 v14, v23, v14
	;; [unrolled: 1-line block ×4, first 2 shown]
	v_fmamk_f32 v23, v16, 0x3f6f5d39, v47
	v_mul_f32_e32 v25, 0x3f29c268, v43
	v_fma_f32 v26, 0xbeb58ec6, v46, -v48
	v_fmac_f32_e32 v47, 0xbf6f5d39, v16
	v_mul_f32_e32 v44, 0xbf3f9e67, v17
	v_add_f32_e32 v18, v23, v18
	v_fmamk_f32 v23, v46, 0xbf3f9e67, v25
	v_add_f32_e32 v24, v26, v24
	v_add_f32_e32 v26, v47, v27
	v_fmamk_f32 v27, v16, 0xbf29c268, v44
	v_mul_f32_e32 v47, 0x3eedf032, v43
	v_add_f32_e32 v22, v23, v22
	v_fma_f32 v23, 0xbf3f9e67, v46, -v25
	v_fmac_f32_e32 v44, 0x3f29c268, v16
	v_add_f32_e32 v25, v27, v29
	v_fmamk_f32 v27, v46, 0x3f62ad3f, v47
	v_mul_f32_e32 v29, 0x3f62ad3f, v17
	v_add_f32_e32 v21, v23, v21
	v_add_f32_e32 v23, v44, v28
	v_mul_f32_e32 v28, 0xbf7e222b, v43
	v_add_f32_e32 v27, v27, v31
	v_fmamk_f32 v31, v16, 0xbeedf032, v29
	v_fma_f32 v44, 0x3f62ad3f, v46, -v47
	v_fmac_f32_e32 v29, 0x3eedf032, v16
	v_fmamk_f32 v47, v46, 0x3df6dbef, v28
	v_mul_f32_e32 v48, 0x3df6dbef, v17
	v_add_f32_e32 v31, v31, v37
	v_add_f32_e32 v30, v44, v30
	;; [unrolled: 1-line block ×4, first 2 shown]
	v_fmamk_f32 v35, v16, 0x3f7e222b, v48
	v_mul_f32_e32 v37, 0x3e750f2a, v43
	v_fma_f32 v28, 0x3df6dbef, v46, -v28
	v_mul_f32_e32 v44, 0xbf788fa5, v17
	v_mul_f32_e32 v43, 0x3f52af12, v43
	v_add_f32_e32 v35, v35, v38
	v_fmamk_f32 v38, v46, 0xbf788fa5, v37
	v_add_f32_e32 v28, v28, v34
	v_fmamk_f32 v34, v16, 0xbe750f2a, v44
	v_fma_f32 v37, 0xbf788fa5, v46, -v37
	v_fmac_f32_e32 v44, 0x3e750f2a, v16
	v_mul_f32_e32 v17, 0x3f116cb1, v17
	v_fmac_f32_e32 v48, 0xbf7e222b, v16
	v_add_f32_e32 v34, v34, v36
	v_fmamk_f32 v36, v46, 0x3f116cb1, v43
	v_add_f32_e32 v37, v37, v39
	v_sub_f32_e32 v39, v12, v19
	v_add_f32_e32 v40, v44, v40
	v_add_f32_e32 v12, v12, v19
	;; [unrolled: 1-line block ×4, first 2 shown]
	v_mul_f32_e32 v44, 0xbf29c268, v39
	v_add_f32_e32 v38, v38, v41
	v_fmamk_f32 v41, v16, 0xbf52af12, v17
	v_fma_f32 v19, 0x3f116cb1, v46, -v43
	v_fmac_f32_e32 v17, 0x3f52af12, v16
	v_sub_f32_e32 v11, v11, v20
	v_fmamk_f32 v16, v42, 0xbf3f9e67, v44
	v_mul_f32_e32 v20, 0xbf3f9e67, v12
	v_add_f32_e32 v33, v41, v33
	v_add_f32_e32 v13, v19, v13
	;; [unrolled: 1-line block ×4, first 2 shown]
	v_fmamk_f32 v16, v11, 0x3f29c268, v20
	v_mul_f32_e32 v17, 0x3f7e222b, v39
	v_fma_f32 v19, 0xbf3f9e67, v42, -v44
	v_fmac_f32_e32 v20, 0xbf29c268, v11
	v_mul_f32_e32 v41, 0x3df6dbef, v12
	v_add_f32_e32 v16, v16, v18
	v_fmamk_f32 v18, v42, 0x3df6dbef, v17
	v_add_f32_e32 v19, v19, v24
	v_add_f32_e32 v20, v20, v26
	v_fmamk_f32 v24, v11, 0xbf7e222b, v41
	v_mul_f32_e32 v26, 0xbf52af12, v39
	v_fma_f32 v17, 0x3df6dbef, v42, -v17
	v_fmac_f32_e32 v41, 0x3f7e222b, v11
	v_add_f32_e32 v18, v18, v22
	v_add_f32_e32 v22, v24, v25
	v_fmamk_f32 v24, v42, 0x3f116cb1, v26
	v_mul_f32_e32 v25, 0x3f116cb1, v12
	v_add_f32_e32 v17, v17, v21
	v_add_f32_e32 v21, v41, v23
	v_mul_f32_e32 v23, 0x3e750f2a, v39
	v_add_f32_e32 v45, v55, v45
	v_add_f32_e32 v24, v24, v27
	v_fmamk_f32 v27, v11, 0x3f52af12, v25
	v_fmac_f32_e32 v25, 0xbf52af12, v11
	v_fmamk_f32 v41, v42, 0xbf788fa5, v23
	v_add_f32_e32 v45, v51, v45
	v_fma_f32 v26, 0x3f116cb1, v42, -v26
	v_mul_f32_e32 v43, 0xbf788fa5, v12
	v_add_f32_e32 v25, v25, v29
	v_add_f32_e32 v29, v41, v32
	v_fma_f32 v23, 0xbf788fa5, v42, -v23
	v_mul_f32_e32 v32, 0x3f62ad3f, v12
	v_add_f32_e32 v45, v48, v45
	v_add_f32_e32 v27, v27, v31
	;; [unrolled: 1-line block ×3, first 2 shown]
	v_fmamk_f32 v30, v11, 0xbe750f2a, v43
	v_mul_f32_e32 v31, 0x3eedf032, v39
	v_fmac_f32_e32 v43, 0x3e750f2a, v11
	v_add_f32_e32 v23, v23, v28
	v_fmamk_f32 v28, v11, 0xbeedf032, v32
	v_mul_f32_e32 v39, 0xbf6f5d39, v39
	v_add_f32_e32 v30, v30, v35
	v_fmamk_f32 v35, v42, 0x3f62ad3f, v31
	v_add_f32_e32 v41, v43, v45
	v_fma_f32 v31, 0x3f62ad3f, v42, -v31
	v_add_f32_e32 v28, v28, v34
	v_fmamk_f32 v34, v42, 0xbeb58ec6, v39
	v_mul_f32_e32 v12, 0xbeb58ec6, v12
	v_add_f32_e32 v43, v9, v10
	v_fmac_f32_e32 v32, 0x3eedf032, v11
	v_add_f32_e32 v31, v31, v37
	v_sub_f32_e32 v37, v9, v10
	v_add_f32_e32 v34, v34, v36
	v_fmamk_f32 v36, v11, 0x3f6f5d39, v12
	v_fma_f32 v9, 0xbeb58ec6, v42, -v39
	v_fmac_f32_e32 v12, 0xbf6f5d39, v11
	v_sub_f32_e32 v39, v7, v8
	v_mul_f32_e32 v10, 0xbf788fa5, v43
	v_add_f32_e32 v35, v35, v38
	v_add_f32_e32 v32, v32, v40
	;; [unrolled: 1-line block ×3, first 2 shown]
	v_mul_f32_e32 v40, 0xbe750f2a, v37
	v_add_f32_e32 v42, v12, v14
	v_fmamk_f32 v8, v39, 0x3e750f2a, v10
	v_mul_f32_e32 v12, 0x3eedf032, v37
	v_add_f32_e32 v33, v36, v33
	v_fmamk_f32 v7, v38, 0xbf788fa5, v40
	v_add_f32_e32 v36, v9, v13
	v_fma_f32 v9, 0xbf788fa5, v38, -v40
	v_fmac_f32_e32 v10, 0xbe750f2a, v39
	v_mul_f32_e32 v14, 0x3f62ad3f, v43
	v_add_f32_e32 v8, v8, v16
	v_fmamk_f32 v11, v38, 0x3f62ad3f, v12
	v_mul_f32_e32 v16, 0xbf29c268, v37
	v_add_f32_e32 v7, v7, v15
	v_add_f32_e32 v9, v9, v19
	;; [unrolled: 1-line block ×3, first 2 shown]
	v_fmamk_f32 v13, v39, 0xbeedf032, v14
	v_add_f32_e32 v11, v11, v18
	v_fma_f32 v15, 0x3f62ad3f, v38, -v12
	v_fmac_f32_e32 v14, 0x3eedf032, v39
	v_fmamk_f32 v18, v38, 0xbf3f9e67, v16
	v_mul_f32_e32 v19, 0xbf3f9e67, v43
	v_mul_f32_e32 v20, 0x3f52af12, v37
	v_add_f32_e32 v12, v13, v22
	v_add_f32_e32 v13, v15, v17
	;; [unrolled: 1-line block ×4, first 2 shown]
	v_fmamk_f32 v17, v39, 0x3f29c268, v19
	v_fma_f32 v18, 0xbf3f9e67, v38, -v16
	v_fmac_f32_e32 v19, 0xbf29c268, v39
	v_fmamk_f32 v21, v38, 0x3f116cb1, v20
	v_mul_f32_e32 v22, 0x3f116cb1, v43
	v_add_f32_e32 v16, v17, v27
	v_add_f32_e32 v17, v18, v26
	;; [unrolled: 1-line block ×4, first 2 shown]
	v_fmamk_f32 v21, v39, 0xbf52af12, v22
	v_fma_f32 v24, 0x3f116cb1, v38, -v20
	v_mul_f32_e32 v25, 0xbf6f5d39, v37
	v_mul_f32_e32 v26, 0xbeb58ec6, v43
	;; [unrolled: 1-line block ×3, first 2 shown]
	v_add_f32_e32 v20, v21, v30
	v_add_f32_e32 v21, v24, v23
	v_fmamk_f32 v23, v38, 0xbeb58ec6, v25
	v_fmamk_f32 v24, v39, 0x3f6f5d39, v26
	v_fma_f32 v25, 0xbeb58ec6, v38, -v25
	v_mul_f32_e32 v30, 0x3df6dbef, v43
	v_fmac_f32_e32 v22, 0x3f52af12, v39
	v_fmac_f32_e32 v26, 0xbf6f5d39, v39
	v_add_f32_e32 v24, v24, v28
	v_add_f32_e32 v25, v25, v31
	v_fmamk_f32 v28, v38, 0x3df6dbef, v27
	v_fmamk_f32 v29, v39, 0xbf7e222b, v30
	v_fma_f32 v31, 0x3df6dbef, v38, -v27
	v_fmac_f32_e32 v30, 0x3f7e222b, v39
	v_add_f32_e32 v23, v23, v35
	v_add_f32_e32 v27, v28, v34
	;; [unrolled: 1-line block ×7, first 2 shown]
	ds_write2_b64 v121, v[0:1], v[7:8] offset1:117
	ds_write2_b64 v6, v[11:12], v[15:16] offset0:106 offset1:223
	ds_write2_b64 v5, v[19:20], v[23:24] offset0:84 offset1:201
	;; [unrolled: 1-line block ×5, first 2 shown]
	ds_write_b64 v121, v[9:10] offset:11232
	s_waitcnt lgkmcnt(0)
	s_barrier
	buffer_gl0_inv
	ds_read2_b64 v[7:10], v121 offset1:117
	ds_read2_b64 v[11:14], v6 offset0:106 offset1:223
	v_mad_u64_u32 v[15:16], null, s10, v96, 0
	v_mad_u64_u32 v[19:20], null, s8, v122, 0
	v_mov_b32_e32 v6, v16
	s_waitcnt lgkmcnt(1)
	v_mul_f32_e32 v0, v110, v8
	v_mul_f32_e32 v1, v110, v7
	;; [unrolled: 1-line block ×3, first 2 shown]
	s_waitcnt lgkmcnt(0)
	v_mul_f32_e32 v23, v104, v12
	v_mul_f32_e32 v24, v104, v11
	v_fmac_f32_e32 v0, v109, v7
	v_fma_f32 v7, v109, v8, -v1
	v_fma_f32 v16, v101, v10, -v16
	v_fmac_f32_e32 v23, v103, v11
	v_mul_f32_e32 v26, v114, v13
	v_cvt_f64_f32_e32 v[0:1], v0
	v_cvt_f64_f32_e32 v[7:8], v7
	;; [unrolled: 1-line block ×3, first 2 shown]
	v_mul_f64 v[0:1], v[0:1], s[0:1]
	v_mul_f64 v[17:18], v[7:8], s[0:1]
	v_mul_f32_e32 v8, v102, v10
	v_mad_u64_u32 v[6:7], null, s11, v96, v[6:7]
	v_mov_b32_e32 v7, v20
	v_fmac_f32_e32 v8, v101, v9
	v_mov_b32_e32 v16, v6
	v_cvt_f64_f32_e32 v[9:10], v8
	v_fma_f32 v8, v103, v12, -v24
	v_cvt_f64_f32_e32 v[11:12], v23
	v_lshlrev_b64 v[15:16], 3, v[15:16]
	v_mad_u64_u32 v[23:24], null, s9, v122, v[7:8]
	v_cvt_f64_f32_e32 v[24:25], v8
	ds_read2_b64 v[5:8], v5 offset0:84 offset1:201
	v_add_co_u32 v27, vcc_lo, s4, v15
	v_cvt_f32_f64_e32 v0, v[0:1]
	v_cvt_f32_f64_e32 v1, v[17:18]
	v_mov_b32_e32 v20, v23
	v_mul_f32_e32 v23, v114, v14
	v_add_co_ci_u32_e32 v28, vcc_lo, s5, v16, vcc_lo
	v_lshlrev_b64 v[15:16], 3, v[19:20]
	v_mul_f64 v[19:20], v[21:22], s[0:1]
	v_fmac_f32_e32 v23, v113, v13
	v_mul_f64 v[17:18], v[9:10], s[0:1]
	v_fma_f32 v9, v113, v14, -v26
	v_mul_f64 v[21:22], v[11:12], s[0:1]
	s_waitcnt lgkmcnt(0)
	v_mul_f32_e32 v11, v112, v5
	v_mul_f64 v[13:14], v[24:25], s[0:1]
	v_mul_f32_e32 v10, v112, v6
	v_cvt_f64_f32_e32 v[25:26], v9
	v_cvt_f64_f32_e32 v[23:24], v23
	v_fma_f32 v9, v111, v6, -v11
	v_fmac_f32_e32 v10, v111, v5
	v_add_co_u32 v5, vcc_lo, v27, v15
	v_add_co_ci_u32_e32 v6, vcc_lo, v28, v16, vcc_lo
	v_cvt_f64_f32_e32 v[27:28], v9
	v_cvt_f64_f32_e32 v[15:16], v10
	ds_read2_b64 v[9:12], v4 offset0:62 offset1:179
	global_store_dwordx2 v[5:6], v[0:1], off
	v_cvt_f32_f64_e32 v0, v[17:18]
	v_cvt_f32_f64_e32 v1, v[19:20]
	;; [unrolled: 1-line block ×3, first 2 shown]
	v_add_co_u32 v4, vcc_lo, v5, s3
	v_add_co_ci_u32_e32 v5, vcc_lo, s2, v6, vcc_lo
	v_cvt_f32_f64_e32 v18, v[13:14]
	v_mul_f32_e32 v6, v108, v7
	v_mul_f64 v[19:20], v[25:26], s[0:1]
	v_mul_f32_e32 v25, v108, v8
	v_mul_f64 v[13:14], v[23:24], s[0:1]
	v_add_co_u32 v23, vcc_lo, v4, s3
	v_add_co_ci_u32_e32 v24, vcc_lo, s2, v5, vcc_lo
	v_fmac_f32_e32 v25, v107, v7
	v_fma_f32 v6, v107, v8, -v6
	v_mul_f64 v[21:22], v[27:28], s[0:1]
	s_waitcnt lgkmcnt(0)
	v_mul_f32_e32 v7, v106, v10
	v_mul_f32_e32 v27, v106, v9
	v_cvt_f64_f32_e32 v[25:26], v25
	v_mul_f32_e32 v29, v100, v11
	global_store_dwordx2 v[4:5], v[0:1], off
	v_fmac_f32_e32 v7, v105, v9
	v_fma_f32 v8, v105, v10, -v27
	v_cvt_f64_f32_e32 v[0:1], v6
	ds_read2_b64 v[3:6], v3 offset0:40 offset1:157
	v_mul_f64 v[15:16], v[15:16], s[0:1]
	global_store_dwordx2 v[23:24], v[17:18], off
	v_cvt_f64_f32_e32 v[17:18], v7
	v_cvt_f64_f32_e32 v[27:28], v8
	ds_read2_b64 v[7:10], v2 offset0:18 offset1:135
	v_mul_f32_e32 v2, v100, v12
	v_fma_f32 v29, v99, v12, -v29
	v_cvt_f32_f64_e32 v13, v[13:14]
	v_cvt_f32_f64_e32 v14, v[19:20]
	v_add_co_u32 v19, vcc_lo, v23, s3
	v_fmac_f32_e32 v2, v99, v11
	v_add_co_ci_u32_e32 v20, vcc_lo, s2, v24, vcc_lo
	v_cvt_f64_f32_e32 v[29:30], v29
	v_mul_f64 v[23:24], v[25:26], s[0:1]
	v_cvt_f64_f32_e32 v[25:26], v2
	s_waitcnt lgkmcnt(1)
	v_mul_f32_e32 v33, v93, v5
	v_mul_f32_e32 v32, v93, v6
	;; [unrolled: 1-line block ×4, first 2 shown]
	v_mul_f64 v[0:1], v[0:1], s[0:1]
	v_mul_f64 v[11:12], v[17:18], s[0:1]
	;; [unrolled: 1-line block ×3, first 2 shown]
	ds_read_b64 v[27:28], v121 offset:11232
	v_fma_f32 v6, v92, v6, -v33
	s_waitcnt lgkmcnt(1)
	v_mul_f32_e32 v35, v89, v8
	v_mul_f32_e32 v37, v95, v10
	v_fmac_f32_e32 v2, v90, v3
	v_fma_f32 v4, v90, v4, -v31
	v_cvt_f64_f32_e32 v[33:34], v6
	v_mul_f32_e32 v6, v89, v7
	v_fmac_f32_e32 v35, v88, v7
	v_mul_f32_e32 v7, v95, v9
	v_cvt_f32_f64_e32 v15, v[15:16]
	v_cvt_f32_f64_e32 v16, v[21:22]
	v_fmac_f32_e32 v32, v92, v5
	v_fma_f32 v6, v88, v8, -v6
	v_fmac_f32_e32 v37, v94, v9
	v_fma_f32 v10, v94, v10, -v7
	v_cvt_f64_f32_e32 v[2:3], v2
	v_cvt_f64_f32_e32 v[4:5], v4
	v_cvt_f64_f32_e32 v[31:32], v32
	v_cvt_f64_f32_e32 v[35:36], v35
	s_waitcnt lgkmcnt(0)
	v_mul_f32_e32 v38, v98, v28
	v_mul_f32_e32 v39, v98, v27
	v_cvt_f64_f32_e32 v[6:7], v6
	v_cvt_f64_f32_e32 v[8:9], v37
	v_add_co_u32 v21, vcc_lo, v19, s3
	v_fmac_f32_e32 v38, v97, v27
	v_fma_f32 v39, v97, v28, -v39
	v_cvt_f64_f32_e32 v[27:28], v10
	v_add_co_ci_u32_e32 v22, vcc_lo, s2, v20, vcc_lo
	v_cvt_f64_f32_e32 v[37:38], v38
	v_cvt_f64_f32_e32 v[39:40], v39
	global_store_dwordx2 v[19:20], v[13:14], off
	global_store_dwordx2 v[21:22], v[15:16], off
	v_cvt_f32_f64_e32 v14, v[0:1]
	v_mul_f64 v[0:1], v[25:26], s[0:1]
	v_mul_f64 v[15:16], v[29:30], s[0:1]
	v_add_co_u32 v19, vcc_lo, v21, s3
	v_mul_f64 v[2:3], v[2:3], s[0:1]
	v_mul_f64 v[4:5], v[4:5], s[0:1]
	v_add_co_ci_u32_e32 v20, vcc_lo, s2, v22, vcc_lo
	v_cvt_f32_f64_e32 v10, v[11:12]
	v_cvt_f32_f64_e32 v11, v[17:18]
	v_mul_f64 v[17:18], v[31:32], s[0:1]
	v_mul_f64 v[21:22], v[33:34], s[0:1]
	v_cvt_f32_f64_e32 v13, v[23:24]
	v_mul_f64 v[23:24], v[35:36], s[0:1]
	v_mul_f64 v[6:7], v[6:7], s[0:1]
	;; [unrolled: 1-line block ×4, first 2 shown]
	v_add_co_u32 v31, vcc_lo, v19, s3
	v_mul_f64 v[27:28], v[37:38], s[0:1]
	v_mul_f64 v[29:30], v[39:40], s[0:1]
	v_add_co_ci_u32_e32 v32, vcc_lo, s2, v20, vcc_lo
	v_cvt_f32_f64_e32 v0, v[0:1]
	v_cvt_f32_f64_e32 v1, v[15:16]
	v_add_co_u32 v15, vcc_lo, v31, s3
	v_add_co_ci_u32_e32 v16, vcc_lo, s2, v32, vcc_lo
	v_cvt_f32_f64_e32 v2, v[2:3]
	v_cvt_f32_f64_e32 v3, v[4:5]
	v_add_co_u32 v4, vcc_lo, v15, s3
	v_add_co_ci_u32_e32 v5, vcc_lo, s2, v16, vcc_lo
	v_cvt_f32_f64_e32 v17, v[17:18]
	v_cvt_f32_f64_e32 v18, v[21:22]
	;; [unrolled: 1-line block ×8, first 2 shown]
	v_add_co_u32 v23, vcc_lo, v4, s3
	v_add_co_ci_u32_e32 v24, vcc_lo, s2, v5, vcc_lo
	global_store_dwordx2 v[19:20], v[13:14], off
	v_add_co_u32 v12, vcc_lo, v23, s3
	v_add_co_ci_u32_e32 v13, vcc_lo, s2, v24, vcc_lo
	global_store_dwordx2 v[31:32], v[10:11], off
	;; [unrolled: 3-line block ×4, first 2 shown]
	global_store_dwordx2 v[23:24], v[17:18], off
	global_store_dwordx2 v[12:13], v[21:22], off
	;; [unrolled: 1-line block ×4, first 2 shown]
.LBB0_18:
	s_endpgm
	.section	.rodata,"a",@progbits
	.p2align	6, 0x0
	.amdhsa_kernel bluestein_single_fwd_len1521_dim1_sp_op_CI_CI
		.amdhsa_group_segment_fixed_size 12168
		.amdhsa_private_segment_fixed_size 0
		.amdhsa_kernarg_size 104
		.amdhsa_user_sgpr_count 6
		.amdhsa_user_sgpr_private_segment_buffer 1
		.amdhsa_user_sgpr_dispatch_ptr 0
		.amdhsa_user_sgpr_queue_ptr 0
		.amdhsa_user_sgpr_kernarg_segment_ptr 1
		.amdhsa_user_sgpr_dispatch_id 0
		.amdhsa_user_sgpr_flat_scratch_init 0
		.amdhsa_user_sgpr_private_segment_size 0
		.amdhsa_wavefront_size32 1
		.amdhsa_uses_dynamic_stack 0
		.amdhsa_system_sgpr_private_segment_wavefront_offset 0
		.amdhsa_system_sgpr_workgroup_id_x 1
		.amdhsa_system_sgpr_workgroup_id_y 0
		.amdhsa_system_sgpr_workgroup_id_z 0
		.amdhsa_system_sgpr_workgroup_info 0
		.amdhsa_system_vgpr_workitem_id 0
		.amdhsa_next_free_vgpr 197
		.amdhsa_next_free_sgpr 20
		.amdhsa_reserve_vcc 1
		.amdhsa_reserve_flat_scratch 0
		.amdhsa_float_round_mode_32 0
		.amdhsa_float_round_mode_16_64 0
		.amdhsa_float_denorm_mode_32 3
		.amdhsa_float_denorm_mode_16_64 3
		.amdhsa_dx10_clamp 1
		.amdhsa_ieee_mode 1
		.amdhsa_fp16_overflow 0
		.amdhsa_workgroup_processor_mode 1
		.amdhsa_memory_ordered 1
		.amdhsa_forward_progress 0
		.amdhsa_shared_vgpr_count 0
		.amdhsa_exception_fp_ieee_invalid_op 0
		.amdhsa_exception_fp_denorm_src 0
		.amdhsa_exception_fp_ieee_div_zero 0
		.amdhsa_exception_fp_ieee_overflow 0
		.amdhsa_exception_fp_ieee_underflow 0
		.amdhsa_exception_fp_ieee_inexact 0
		.amdhsa_exception_int_div_zero 0
	.end_amdhsa_kernel
	.text
.Lfunc_end0:
	.size	bluestein_single_fwd_len1521_dim1_sp_op_CI_CI, .Lfunc_end0-bluestein_single_fwd_len1521_dim1_sp_op_CI_CI
                                        ; -- End function
	.section	.AMDGPU.csdata,"",@progbits
; Kernel info:
; codeLenInByte = 19448
; NumSgprs: 22
; NumVgprs: 197
; ScratchSize: 0
; MemoryBound: 0
; FloatMode: 240
; IeeeMode: 1
; LDSByteSize: 12168 bytes/workgroup (compile time only)
; SGPRBlocks: 2
; VGPRBlocks: 24
; NumSGPRsForWavesPerEU: 22
; NumVGPRsForWavesPerEU: 197
; Occupancy: 4
; WaveLimiterHint : 1
; COMPUTE_PGM_RSRC2:SCRATCH_EN: 0
; COMPUTE_PGM_RSRC2:USER_SGPR: 6
; COMPUTE_PGM_RSRC2:TRAP_HANDLER: 0
; COMPUTE_PGM_RSRC2:TGID_X_EN: 1
; COMPUTE_PGM_RSRC2:TGID_Y_EN: 0
; COMPUTE_PGM_RSRC2:TGID_Z_EN: 0
; COMPUTE_PGM_RSRC2:TIDIG_COMP_CNT: 0
	.text
	.p2alignl 6, 3214868480
	.fill 48, 4, 3214868480
	.type	__hip_cuid_a7a76ccb7e59740,@object ; @__hip_cuid_a7a76ccb7e59740
	.section	.bss,"aw",@nobits
	.globl	__hip_cuid_a7a76ccb7e59740
__hip_cuid_a7a76ccb7e59740:
	.byte	0                               ; 0x0
	.size	__hip_cuid_a7a76ccb7e59740, 1

	.ident	"AMD clang version 19.0.0git (https://github.com/RadeonOpenCompute/llvm-project roc-6.4.0 25133 c7fe45cf4b819c5991fe208aaa96edf142730f1d)"
	.section	".note.GNU-stack","",@progbits
	.addrsig
	.addrsig_sym __hip_cuid_a7a76ccb7e59740
	.amdgpu_metadata
---
amdhsa.kernels:
  - .args:
      - .actual_access:  read_only
        .address_space:  global
        .offset:         0
        .size:           8
        .value_kind:     global_buffer
      - .actual_access:  read_only
        .address_space:  global
        .offset:         8
        .size:           8
        .value_kind:     global_buffer
      - .actual_access:  read_only
        .address_space:  global
        .offset:         16
        .size:           8
        .value_kind:     global_buffer
      - .actual_access:  read_only
        .address_space:  global
        .offset:         24
        .size:           8
        .value_kind:     global_buffer
      - .actual_access:  read_only
        .address_space:  global
        .offset:         32
        .size:           8
        .value_kind:     global_buffer
      - .offset:         40
        .size:           8
        .value_kind:     by_value
      - .address_space:  global
        .offset:         48
        .size:           8
        .value_kind:     global_buffer
      - .address_space:  global
        .offset:         56
        .size:           8
        .value_kind:     global_buffer
      - .address_space:  global
        .offset:         64
        .size:           8
        .value_kind:     global_buffer
      - .address_space:  global
        .offset:         72
        .size:           8
        .value_kind:     global_buffer
      - .offset:         80
        .size:           4
        .value_kind:     by_value
      - .address_space:  global
        .offset:         88
        .size:           8
        .value_kind:     global_buffer
      - .address_space:  global
        .offset:         96
        .size:           8
        .value_kind:     global_buffer
    .group_segment_fixed_size: 12168
    .kernarg_segment_align: 8
    .kernarg_segment_size: 104
    .language:       OpenCL C
    .language_version:
      - 2
      - 0
    .max_flat_workgroup_size: 117
    .name:           bluestein_single_fwd_len1521_dim1_sp_op_CI_CI
    .private_segment_fixed_size: 0
    .sgpr_count:     22
    .sgpr_spill_count: 0
    .symbol:         bluestein_single_fwd_len1521_dim1_sp_op_CI_CI.kd
    .uniform_work_group_size: 1
    .uses_dynamic_stack: false
    .vgpr_count:     197
    .vgpr_spill_count: 0
    .wavefront_size: 32
    .workgroup_processor_mode: 1
amdhsa.target:   amdgcn-amd-amdhsa--gfx1030
amdhsa.version:
  - 1
  - 2
...

	.end_amdgpu_metadata
